;; amdgpu-corpus repo=ROCm/rocFFT kind=compiled arch=gfx906 opt=O3
	.text
	.amdgcn_target "amdgcn-amd-amdhsa--gfx906"
	.amdhsa_code_object_version 6
	.protected	bluestein_single_fwd_len119_dim1_sp_op_CI_CI ; -- Begin function bluestein_single_fwd_len119_dim1_sp_op_CI_CI
	.globl	bluestein_single_fwd_len119_dim1_sp_op_CI_CI
	.p2align	8
	.type	bluestein_single_fwd_len119_dim1_sp_op_CI_CI,@function
bluestein_single_fwd_len119_dim1_sp_op_CI_CI: ; @bluestein_single_fwd_len119_dim1_sp_op_CI_CI
; %bb.0:
	v_mul_u32_u24_e32 v1, 0xf10, v0
	s_load_dwordx4 s[0:3], s[4:5], 0x28
	v_lshrrev_b32_e32 v1, 16, v1
	v_mad_u64_u32 v[52:53], s[6:7], s6, 15, v[1:2]
	v_mov_b32_e32 v53, 0
	s_waitcnt lgkmcnt(0)
	v_cmp_gt_u64_e32 vcc, s[0:1], v[52:53]
	s_and_saveexec_b64 s[0:1], vcc
	s_cbranch_execz .LBB0_15
; %bb.1:
	s_mov_b32 s0, 0x88888889
	v_mul_hi_u32 v2, v52, s0
	s_load_dwordx2 s[6:7], s[4:5], 0x0
	s_load_dwordx2 s[12:13], s[4:5], 0x38
	v_mul_lo_u16_e32 v1, 17, v1
	v_sub_u16_e32 v59, v0, v1
	v_lshrrev_b32_e32 v2, 3, v2
	v_mul_lo_u32 v2, v2, 15
	v_cmp_gt_u16_e32 vcc, 7, v59
	v_lshlrev_b32_e32 v60, 3, v59
	v_or_b32_e32 v61, 56, v59
	v_sub_u32_e32 v0, v52, v2
	v_mul_u32_u24_e32 v55, 0x77, v0
	v_lshlrev_b32_e32 v62, 3, v55
	s_and_saveexec_b64 s[14:15], vcc
	s_cbranch_execz .LBB0_3
; %bb.2:
	s_load_dwordx2 s[0:1], s[4:5], 0x18
	v_mov_b32_e32 v36, 0x70
	v_or_b32_e32 v69, 0x70, v59
	s_waitcnt lgkmcnt(0)
	s_load_dwordx4 s[8:11], s[0:1], 0x0
	s_waitcnt lgkmcnt(0)
	v_mad_u64_u32 v[0:1], s[0:1], s10, v52, 0
	v_mad_u64_u32 v[2:3], s[0:1], s8, v59, 0
	;; [unrolled: 1-line block ×4, first 2 shown]
	v_mov_b32_e32 v1, v4
	v_lshlrev_b64 v[0:1], 3, v[0:1]
	v_mov_b32_e32 v3, v5
	v_mov_b32_e32 v6, s3
	v_lshlrev_b64 v[2:3], 3, v[2:3]
	v_add_co_u32_e64 v74, s[0:1], s2, v0
	v_addc_co_u32_e64 v75, s[0:1], v6, v1, s[0:1]
	v_add_co_u32_e64 v0, s[0:1], v74, v2
	v_addc_co_u32_e64 v1, s[0:1], v75, v3, s[0:1]
	s_mul_i32 s0, s9, 56
	s_mul_hi_u32 s3, s8, 56
	s_add_i32 s3, s3, s0
	s_mul_i32 s2, s8, 56
	v_mov_b32_e32 v3, s3
	v_add_co_u32_e64 v2, s[0:1], s2, v0
	v_addc_co_u32_e64 v3, s[0:1], v1, v3, s[0:1]
	v_mov_b32_e32 v5, s3
	v_add_co_u32_e64 v4, s[0:1], s2, v2
	v_addc_co_u32_e64 v5, s[0:1], v3, v5, s[0:1]
	;; [unrolled: 3-line block ×3, first 2 shown]
	global_load_dwordx2 v[8:9], v[0:1], off
	global_load_dwordx2 v[10:11], v[2:3], off
	;; [unrolled: 1-line block ×4, first 2 shown]
	global_load_dwordx2 v[16:17], v60, s[6:7]
	global_load_dwordx2 v[18:19], v60, s[6:7] offset:56
	global_load_dwordx2 v[20:21], v60, s[6:7] offset:112
	;; [unrolled: 1-line block ×3, first 2 shown]
	v_mov_b32_e32 v1, s3
	v_add_co_u32_e64 v0, s[0:1], s2, v6
	v_addc_co_u32_e64 v1, s[0:1], v7, v1, s[0:1]
	global_load_dwordx2 v[2:3], v[0:1], off
	global_load_dwordx2 v[6:7], v60, s[6:7] offset:224
	global_load_dwordx2 v[24:25], v60, s[6:7] offset:280
	;; [unrolled: 1-line block ×4, first 2 shown]
	v_mad_u64_u32 v[4:5], s[0:1], s8, v61, 0
	v_mov_b32_e32 v32, s3
	v_mov_b32_e32 v34, s3
	;; [unrolled: 1-line block ×8, first 2 shown]
	s_waitcnt vmcnt(3)
	v_mad_u64_u32 v[30:31], s[0:1], s9, v61, v[5:6]
	v_mov_b32_e32 v31, s3
	v_add_co_u32_e64 v0, s[0:1], s2, v0
	v_addc_co_u32_e64 v1, s[0:1], v1, v31, s[0:1]
	v_mov_b32_e32 v5, v30
	global_load_dwordx2 v[30:31], v[0:1], off
	v_add_co_u32_e64 v0, s[0:1], s2, v0
	v_addc_co_u32_e64 v1, s[0:1], v1, v32, s[0:1]
	global_load_dwordx2 v[32:33], v[0:1], off
	v_add_co_u32_e64 v0, s[0:1], s2, v0
	v_addc_co_u32_e64 v1, s[0:1], v1, v34, s[0:1]
	v_lshlrev_b64 v[4:5], 3, v[4:5]
	global_load_dwordx2 v[34:35], v[0:1], off
	v_mad_u64_u32 v[0:1], s[0:1], s8, v36, v[0:1]
	v_add_co_u32_e64 v4, s[0:1], v74, v4
	v_addc_co_u32_e64 v5, s[0:1], v75, v5, s[0:1]
	s_mul_i32 s0, s9, 0x70
	v_add_u32_e32 v1, s0, v1
	global_load_dwordx2 v[36:37], v[0:1], off
	v_add_co_u32_e64 v0, s[0:1], s2, v0
	v_addc_co_u32_e64 v1, s[0:1], v1, v38, s[0:1]
	global_load_dwordx2 v[38:39], v[0:1], off
	v_add_co_u32_e64 v0, s[0:1], s2, v0
	v_addc_co_u32_e64 v1, s[0:1], v1, v40, s[0:1]
	global_load_dwordx2 v[4:5], v[4:5], off
	s_nop 0
	global_load_dwordx2 v[40:41], v[0:1], off
	global_load_dwordx2 v[42:43], v60, s[6:7] offset:448
	global_load_dwordx2 v[44:45], v60, s[6:7] offset:504
	;; [unrolled: 1-line block ×4, first 2 shown]
	v_add_co_u32_e64 v0, s[0:1], s2, v0
	v_addc_co_u32_e64 v1, s[0:1], v1, v50, s[0:1]
	global_load_dwordx2 v[50:51], v[0:1], off
	v_add_co_u32_e64 v0, s[0:1], s2, v0
	v_addc_co_u32_e64 v1, s[0:1], v1, v53, s[0:1]
	v_mad_u64_u32 v[65:66], s[0:1], s8, v69, 0
	global_load_dwordx2 v[53:54], v[0:1], off
	global_load_dwordx2 v[56:57], v60, s[6:7] offset:672
	global_load_dwordx2 v[63:64], v60, s[6:7] offset:728
	v_add_co_u32_e64 v0, s[0:1], s2, v0
	v_addc_co_u32_e64 v1, s[0:1], v1, v58, s[0:1]
	v_mov_b32_e32 v58, v66
	v_mad_u64_u32 v[69:70], s[0:1], s9, v69, v[58:59]
	global_load_dwordx2 v[67:68], v[0:1], off
	v_add_co_u32_e64 v0, s[0:1], s2, v0
	v_mov_b32_e32 v66, v69
	v_addc_co_u32_e64 v1, s[0:1], v1, v71, s[0:1]
	v_lshlrev_b64 v[65:66], 3, v[65:66]
	global_load_dwordx2 v[70:71], v[0:1], off
	global_load_dwordx2 v[72:73], v60, s[6:7] offset:784
	v_add_co_u32_e64 v65, s[0:1], v74, v65
	global_load_dwordx2 v[0:1], v60, s[6:7] offset:840
	v_addc_co_u32_e64 v66, s[0:1], v75, v66, s[0:1]
	global_load_dwordx2 v[74:75], v[65:66], off
	global_load_dwordx2 v[76:77], v60, s[6:7] offset:896
	v_mul_f32_e32 v65, v9, v17
	v_mul_f32_e32 v17, v8, v17
	v_fmac_f32_e32 v65, v8, v16
	v_fma_f32 v66, v9, v16, -v17
	v_mul_f32_e32 v8, v11, v19
	v_mul_f32_e32 v9, v10, v19
	v_fmac_f32_e32 v8, v10, v18
	v_fma_f32 v9, v11, v18, -v9
	v_mul_f32_e32 v10, v13, v21
	v_mul_f32_e32 v11, v12, v21
	v_lshl_add_u32 v58, v59, 3, v62
	v_add_u32_e32 v69, v62, v60
	v_fmac_f32_e32 v10, v12, v20
	v_fma_f32 v11, v13, v20, -v11
	ds_write_b64 v58, v[65:66]
	ds_write2_b64 v69, v[8:9], v[10:11] offset0:7 offset1:14
	v_mul_f32_e32 v8, v3, v7
	v_mul_f32_e32 v7, v2, v7
	v_fmac_f32_e32 v8, v2, v6
	v_fma_f32 v9, v3, v6, -v7
	s_waitcnt vmcnt(20)
	v_mul_f32_e32 v2, v31, v25
	v_mul_f32_e32 v3, v30, v25
	s_waitcnt vmcnt(19)
	v_mul_f32_e32 v6, v33, v27
	v_mul_f32_e32 v7, v32, v27
	v_fmac_f32_e32 v2, v30, v24
	v_fma_f32 v3, v31, v24, -v3
	v_fmac_f32_e32 v6, v32, v26
	v_fma_f32 v7, v33, v26, -v7
	ds_write2_b64 v69, v[2:3], v[6:7] offset0:35 offset1:42
	s_waitcnt vmcnt(18)
	v_mul_f32_e32 v2, v35, v29
	v_mul_f32_e32 v3, v34, v29
	v_fmac_f32_e32 v2, v34, v28
	v_fma_f32 v3, v35, v28, -v3
	v_mul_f32_e32 v12, v15, v23
	v_mul_f32_e32 v13, v14, v23
	v_fmac_f32_e32 v12, v14, v22
	v_fma_f32 v13, v15, v22, -v13
	ds_write2_b64 v69, v[12:13], v[8:9] offset0:21 offset1:28
	s_waitcnt vmcnt(13)
	v_mul_f32_e32 v6, v5, v43
	v_fmac_f32_e32 v6, v4, v42
	v_mul_f32_e32 v4, v4, v43
	v_fma_f32 v7, v5, v42, -v4
	ds_write2_b64 v69, v[2:3], v[6:7] offset0:49 offset1:56
	s_waitcnt vmcnt(12)
	v_mul_f32_e32 v2, v37, v45
	v_mul_f32_e32 v3, v36, v45
	s_waitcnt vmcnt(11)
	v_mul_f32_e32 v4, v39, v47
	v_mul_f32_e32 v5, v38, v47
	v_fmac_f32_e32 v2, v36, v44
	v_fma_f32 v3, v37, v44, -v3
	v_fmac_f32_e32 v4, v38, v46
	v_fma_f32 v5, v39, v46, -v5
	ds_write2_b64 v69, v[2:3], v[4:5] offset0:63 offset1:70
	s_waitcnt vmcnt(10)
	v_mul_f32_e32 v2, v41, v49
	v_mul_f32_e32 v3, v40, v49
	s_waitcnt vmcnt(7)
	v_mul_f32_e32 v4, v51, v57
	v_mul_f32_e32 v5, v50, v57
	v_fmac_f32_e32 v2, v40, v48
	v_fma_f32 v3, v41, v48, -v3
	v_fmac_f32_e32 v4, v50, v56
	v_fma_f32 v5, v51, v56, -v5
	ds_write2_b64 v69, v[2:3], v[4:5] offset0:77 offset1:84
	s_waitcnt vmcnt(6)
	v_mul_f32_e32 v2, v54, v64
	v_mul_f32_e32 v3, v53, v64
	v_fmac_f32_e32 v2, v53, v63
	v_fma_f32 v3, v54, v63, -v3
	s_waitcnt vmcnt(3)
	v_mul_f32_e32 v4, v68, v73
	v_mul_f32_e32 v5, v67, v73
	v_fmac_f32_e32 v4, v67, v72
	v_fma_f32 v5, v68, v72, -v5
	ds_write2_b64 v69, v[2:3], v[4:5] offset0:91 offset1:98
	s_waitcnt vmcnt(2)
	v_mul_f32_e32 v2, v71, v1
	v_mul_f32_e32 v1, v70, v1
	v_fmac_f32_e32 v2, v70, v0
	v_fma_f32 v3, v71, v0, -v1
	s_waitcnt vmcnt(0)
	v_mul_f32_e32 v0, v75, v77
	v_mul_f32_e32 v1, v74, v77
	v_fmac_f32_e32 v0, v74, v76
	v_fma_f32 v1, v75, v76, -v1
	ds_write2_b64 v69, v[2:3], v[0:1] offset0:105 offset1:112
.LBB0_3:
	s_or_b64 exec, exec, s[14:15]
	s_load_dwordx2 s[0:1], s[4:5], 0x20
	s_load_dwordx2 s[8:9], s[4:5], 0x8
	v_mov_b32_e32 v16, 0
	v_mov_b32_e32 v17, 0
	s_waitcnt lgkmcnt(0)
	s_barrier
	s_waitcnt lgkmcnt(0)
                                        ; implicit-def: $vgpr35
                                        ; implicit-def: $vgpr31
                                        ; implicit-def: $vgpr23
                                        ; implicit-def: $vgpr48
                                        ; implicit-def: $vgpr12
                                        ; implicit-def: $vgpr46
                                        ; implicit-def: $vgpr42
                                        ; implicit-def: $vgpr38
	s_and_saveexec_b64 s[2:3], vcc
	s_cbranch_execz .LBB0_5
; %bb.4:
	v_lshl_add_u32 v0, v55, 3, v60
	ds_read2_b64 v[16:19], v0 offset1:7
	ds_read2_b64 v[36:39], v0 offset0:14 offset1:21
	ds_read2_b64 v[40:43], v0 offset0:28 offset1:35
	;; [unrolled: 1-line block ×7, first 2 shown]
	ds_read_b64 v[12:13], v0 offset:896
.LBB0_5:
	s_or_b64 exec, exec, s[2:3]
	s_waitcnt lgkmcnt(0)
	v_sub_f32_e32 v25, v19, v13
	v_mul_f32_e32 v56, 0xbeb8f4ab, v25
	v_sub_f32_e32 v27, v37, v51
	v_add_f32_e32 v69, v12, v18
	v_sub_f32_e32 v24, v18, v12
	v_mov_b32_e32 v0, v56
	v_mul_f32_e32 v58, 0xbf2c7751, v27
	v_add_f32_e32 v70, v13, v19
	s_mov_b32 s2, 0x3f6eb680
	v_mul_f32_e32 v57, 0xbeb8f4ab, v24
	v_fmac_f32_e32 v0, 0x3f6eb680, v69
	v_add_f32_e32 v73, v50, v36
	v_sub_f32_e32 v26, v36, v50
	v_mov_b32_e32 v2, v58
	v_add_f32_e32 v0, v0, v16
	v_fma_f32 v1, v70, s2, -v57
	s_mov_b32 s3, 0x3f3d2fb0
	v_add_f32_e32 v74, v51, v37
	v_mul_f32_e32 v63, 0xbf2c7751, v26
	v_fmac_f32_e32 v2, 0x3f3d2fb0, v73
	v_sub_f32_e32 v85, v39, v49
	v_add_f32_e32 v1, v1, v17
	v_add_f32_e32 v0, v2, v0
	v_fma_f32 v2, v74, s3, -v63
	v_mul_f32_e32 v65, 0xbf65296c, v85
	v_add_f32_e32 v1, v2, v1
	v_add_f32_e32 v77, v48, v38
	v_sub_f32_e32 v64, v38, v48
	v_mov_b32_e32 v2, v65
	s_mov_b32 s4, 0x3ee437d1
	v_add_f32_e32 v78, v49, v39
	v_mul_f32_e32 v66, 0xbf65296c, v64
	v_fmac_f32_e32 v2, 0x3ee437d1, v77
	v_sub_f32_e32 v92, v41, v35
	v_add_f32_e32 v0, v2, v0
	v_fma_f32 v2, v78, s4, -v66
	v_mul_f32_e32 v67, 0xbf7ee86f, v92
	v_add_f32_e32 v1, v2, v1
	v_add_f32_e32 v80, v34, v40
	v_mov_b32_e32 v2, v67
	v_sub_f32_e32 v95, v40, v34
	s_mov_b32 s5, 0x3dbcf732
	v_add_f32_e32 v81, v35, v41
	v_fmac_f32_e32 v2, 0x3dbcf732, v80
	v_mul_f32_e32 v68, 0xbf7ee86f, v95
	v_sub_f32_e32 v110, v43, v33
	v_add_f32_e32 v0, v2, v0
	v_fma_f32 v2, v81, s5, -v68
	v_mul_f32_e32 v71, 0xbf763a35, v110
	v_add_f32_e32 v1, v2, v1
	v_add_f32_e32 v84, v32, v42
	v_mov_b32_e32 v2, v71
	v_sub_f32_e32 v111, v42, v32
	v_fmac_f32_e32 v2, 0xbe8c1d8e, v84
	s_mov_b32 s10, 0xbe8c1d8e
	v_add_f32_e32 v86, v33, v43
	v_mul_f32_e32 v72, 0xbf763a35, v111
	v_sub_f32_e32 v130, v45, v31
	v_add_f32_e32 v0, v2, v0
	v_fma_f32 v2, v86, s10, -v72
	v_mul_f32_e32 v75, 0xbf4c4adb, v130
	v_add_f32_e32 v1, v2, v1
	v_add_f32_e32 v90, v30, v44
	v_mov_b32_e32 v2, v75
	v_sub_f32_e32 v131, v44, v30
	v_fmac_f32_e32 v2, 0xbf1a4643, v90
	s_mov_b32 s11, 0xbf1a4643
	v_add_f32_e32 v94, v31, v45
	;; [unrolled: 12-line block ×3, first 2 shown]
	v_mul_f32_e32 v82, 0xbf06c442, v181
	v_sub_f32_e32 v182, v21, v23
	v_add_f32_e32 v0, v2, v0
	v_fma_f32 v2, v109, s14, -v82
	v_mul_f32_e32 v83, 0xbe3c28d5, v182
	v_add_f32_e32 v1, v2, v1
	v_add_f32_e32 v120, v22, v20
	v_mov_b32_e32 v2, v83
	v_sub_f32_e32 v183, v20, v22
	s_mov_b32 s15, 0xbf7ba420
	v_fmac_f32_e32 v2, 0xbf7ba420, v120
	v_add_f32_e32 v123, v23, v21
	v_mul_f32_e32 v87, 0xbe3c28d5, v183
	v_add_f32_e32 v53, v2, v0
	v_fma_f32 v0, v123, s15, -v87
	v_mul_f32_e32 v88, 0xbf2c7751, v25
	v_add_f32_e32 v54, v0, v1
	v_mov_b32_e32 v0, v88
	v_mul_f32_e32 v89, 0xbf7ee86f, v27
	v_fmac_f32_e32 v0, 0x3f3d2fb0, v69
	v_mov_b32_e32 v1, v89
	v_add_f32_e32 v0, v0, v16
	v_fmac_f32_e32 v1, 0x3dbcf732, v73
	v_mul_f32_e32 v97, 0xbf2c7751, v24
	v_add_f32_e32 v0, v1, v0
	v_fma_f32 v1, v70, s3, -v97
	v_mul_f32_e32 v98, 0xbf7ee86f, v26
	v_add_f32_e32 v1, v1, v17
	v_fma_f32 v2, v74, s5, -v98
	v_mul_f32_e32 v91, 0xbf4c4adb, v85
	v_add_f32_e32 v1, v2, v1
	v_mov_b32_e32 v2, v91
	v_fmac_f32_e32 v2, 0xbf1a4643, v77
	v_mul_f32_e32 v100, 0xbf4c4adb, v64
	v_add_f32_e32 v0, v2, v0
	v_fma_f32 v2, v78, s11, -v100
	v_mul_f32_e32 v93, 0xbe3c28d5, v92
	v_add_f32_e32 v1, v2, v1
	v_mov_b32_e32 v2, v93
	v_fmac_f32_e32 v2, 0xbf7ba420, v80
	;; [unrolled: 7-line block ×6, first 2 shown]
	v_mul_f32_e32 v107, 0x3eb8f4ab, v183
	v_mul_f32_e32 v112, 0xbf65296c, v25
	v_fma_f32 v3, v123, s2, -v107
	v_add_f32_e32 v2, v2, v0
	v_mov_b32_e32 v0, v112
	v_mul_f32_e32 v113, 0xbf4c4adb, v27
	v_add_f32_e32 v3, v3, v1
	v_fmac_f32_e32 v0, 0x3ee437d1, v69
	v_mov_b32_e32 v1, v113
	v_add_f32_e32 v0, v0, v16
	v_fmac_f32_e32 v1, 0xbf1a4643, v73
	v_mul_f32_e32 v114, 0x3e3c28d5, v85
	v_add_f32_e32 v0, v1, v0
	v_mov_b32_e32 v1, v114
	v_fmac_f32_e32 v1, 0xbf7ba420, v77
	v_mul_f32_e32 v115, 0x3f763a35, v92
	v_add_f32_e32 v0, v1, v0
	v_mov_b32_e32 v1, v115
	;; [unrolled: 4-line block ×6, first 2 shown]
	v_fmac_f32_e32 v1, 0xbf59a7d5, v120
	v_mul_f32_e32 v121, 0xbf65296c, v24
	v_add_f32_e32 v0, v1, v0
	v_fma_f32 v1, v70, s4, -v121
	v_mul_f32_e32 v122, 0xbf4c4adb, v26
	v_add_f32_e32 v1, v1, v17
	v_fma_f32 v4, v74, s11, -v122
	;; [unrolled: 3-line block ×8, first 2 shown]
	v_mul_f32_e32 v132, 0xbf7ee86f, v25
	v_add_f32_e32 v1, v4, v1
	v_mov_b32_e32 v4, v132
	v_mul_f32_e32 v133, 0xbe3c28d5, v27
	v_fmac_f32_e32 v4, 0x3dbcf732, v69
	v_mov_b32_e32 v5, v133
	v_add_f32_e32 v4, v4, v16
	v_fmac_f32_e32 v5, 0xbf7ba420, v73
	v_mul_f32_e32 v137, 0xbf7ee86f, v24
	v_add_f32_e32 v4, v5, v4
	v_fma_f32 v5, v70, s5, -v137
	v_mul_f32_e32 v138, 0xbe3c28d5, v26
	v_add_f32_e32 v5, v5, v17
	v_fma_f32 v6, v74, s15, -v138
	v_mul_f32_e32 v134, 0x3f763a35, v85
	v_add_f32_e32 v5, v6, v5
	v_mov_b32_e32 v6, v134
	v_fmac_f32_e32 v6, 0xbe8c1d8e, v77
	v_mul_f32_e32 v140, 0x3f763a35, v64
	v_add_f32_e32 v4, v6, v4
	v_fma_f32 v6, v78, s10, -v140
	v_mul_f32_e32 v135, 0x3eb8f4ab, v92
	v_add_f32_e32 v5, v6, v5
	v_mov_b32_e32 v6, v135
	v_fmac_f32_e32 v6, 0x3f6eb680, v80
	;; [unrolled: 7-line block ×6, first 2 shown]
	v_mul_f32_e32 v147, 0x3f2c7751, v183
	v_mul_f32_e32 v148, 0xbf763a35, v25
	v_fma_f32 v7, v123, s3, -v147
	v_add_f32_e32 v6, v6, v4
	v_mov_b32_e32 v4, v148
	v_mul_f32_e32 v149, 0x3f06c442, v27
	v_add_f32_e32 v7, v7, v5
	v_fmac_f32_e32 v4, 0xbe8c1d8e, v69
	v_mov_b32_e32 v5, v149
	v_add_f32_e32 v4, v4, v16
	v_fmac_f32_e32 v5, 0xbf59a7d5, v73
	v_mul_f32_e32 v150, 0x3f2c7751, v85
	v_add_f32_e32 v4, v5, v4
	v_mov_b32_e32 v5, v150
	v_fmac_f32_e32 v5, 0x3f3d2fb0, v77
	v_mul_f32_e32 v151, 0xbf65296c, v92
	v_add_f32_e32 v4, v5, v4
	v_mov_b32_e32 v5, v151
	;; [unrolled: 4-line block ×6, first 2 shown]
	v_fmac_f32_e32 v5, 0xbf1a4643, v120
	v_mul_f32_e32 v156, 0xbf763a35, v24
	v_add_f32_e32 v4, v5, v4
	v_fma_f32 v5, v70, s10, -v156
	v_mul_f32_e32 v157, 0x3f06c442, v26
	v_add_f32_e32 v5, v5, v17
	v_fma_f32 v8, v74, s14, -v157
	v_mul_f32_e32 v158, 0x3f2c7751, v64
	v_add_f32_e32 v5, v8, v5
	v_fma_f32 v8, v78, s3, -v158
	v_mul_f32_e32 v159, 0xbf65296c, v95
	v_add_f32_e32 v5, v8, v5
	v_fma_f32 v8, v81, s4, -v159
	v_mul_f32_e32 v160, 0xbe3c28d5, v111
	v_add_f32_e32 v5, v8, v5
	v_fma_f32 v8, v86, s15, -v160
	v_mul_f32_e32 v161, 0x3f7ee86f, v131
	v_add_f32_e32 v5, v8, v5
	v_fma_f32 v8, v94, s5, -v161
	v_mul_f32_e32 v162, 0xbeb8f4ab, v181
	v_add_f32_e32 v5, v8, v5
	v_fma_f32 v8, v109, s2, -v162
	v_mul_f32_e32 v163, 0xbf4c4adb, v183
	v_add_f32_e32 v5, v8, v5
	v_fma_f32 v8, v123, s11, -v163
	v_mul_f32_e32 v164, 0xbf4c4adb, v25
	v_add_f32_e32 v5, v8, v5
	v_mov_b32_e32 v8, v164
	v_mul_f32_e32 v165, 0x3f763a35, v27
	v_fmac_f32_e32 v8, 0xbf1a4643, v69
	v_mov_b32_e32 v9, v165
	v_add_f32_e32 v8, v8, v16
	v_fmac_f32_e32 v9, 0xbe8c1d8e, v73
	v_mul_f32_e32 v169, 0xbf4c4adb, v24
	v_add_f32_e32 v8, v9, v8
	v_fma_f32 v9, v70, s11, -v169
	v_mul_f32_e32 v170, 0x3f763a35, v26
	v_add_f32_e32 v9, v9, v17
	v_fma_f32 v10, v74, s10, -v170
	v_mul_f32_e32 v166, 0xbeb8f4ab, v85
	v_add_f32_e32 v9, v10, v9
	v_mov_b32_e32 v10, v166
	v_fmac_f32_e32 v10, 0x3f6eb680, v77
	v_mul_f32_e32 v172, 0xbeb8f4ab, v64
	v_add_f32_e32 v8, v10, v8
	v_fma_f32 v10, v78, s2, -v172
	v_mul_f32_e32 v167, 0xbf06c442, v92
	v_add_f32_e32 v9, v10, v9
	v_mov_b32_e32 v10, v167
	v_fmac_f32_e32 v10, 0xbf59a7d5, v80
	;; [unrolled: 7-line block ×6, first 2 shown]
	v_mul_f32_e32 v179, 0x3f65296c, v183
	v_fma_f32 v11, v123, s4, -v179
	v_add_f32_e32 v10, v10, v8
	v_mul_f32_e32 v8, 0xbf06c442, v25
	v_add_f32_e32 v11, v11, v9
	v_fma_f32 v9, v69, s14, -v8
	v_mul_f32_e32 v184, 0x3f65296c, v27
	v_add_f32_e32 v9, v9, v16
	v_fma_f32 v14, v73, s4, -v184
	v_mul_f32_e32 v185, 0xbf06c442, v24
	v_add_f32_e32 v9, v14, v9
	v_mov_b32_e32 v14, v185
	v_mul_f32_e32 v186, 0x3f65296c, v26
	v_fmac_f32_e32 v14, 0xbf59a7d5, v70
	v_mov_b32_e32 v15, v186
	v_add_f32_e32 v14, v14, v17
	v_fmac_f32_e32 v15, 0x3ee437d1, v74
	v_mul_f32_e32 v187, 0xbf7ee86f, v85
	v_add_f32_e32 v14, v15, v14
	v_fma_f32 v15, v77, s5, -v187
	v_mul_f32_e32 v188, 0xbf7ee86f, v64
	v_add_f32_e32 v9, v15, v9
	v_mov_b32_e32 v15, v188
	v_fmac_f32_e32 v15, 0x3dbcf732, v78
	v_mul_f32_e32 v189, 0x3f4c4adb, v92
	v_add_f32_e32 v14, v15, v14
	v_fma_f32 v15, v80, s11, -v189
	v_mul_f32_e32 v190, 0x3f4c4adb, v95
	v_add_f32_e32 v9, v15, v9
	v_mov_b32_e32 v15, v190
	;; [unrolled: 7-line block ×5, first 2 shown]
	v_fmac_f32_e32 v15, 0x3f3d2fb0, v109
	v_mul_f32_e32 v199, 0xbf763a35, v182
	v_add_f32_e32 v15, v15, v14
	v_fma_f32 v14, v120, s10, -v199
	v_fmac_f32_e32 v8, 0xbf59a7d5, v69
	v_add_f32_e32 v14, v14, v9
	v_add_f32_e32 v8, v8, v16
	v_fmac_f32_e32 v184, 0x3ee437d1, v73
	v_fma_f32 v9, v70, s14, -v185
	v_add_f32_e32 v8, v184, v8
	v_add_f32_e32 v9, v9, v17
	v_fma_f32 v184, v74, s4, -v186
	v_add_f32_e32 v9, v184, v9
	v_fma_f32 v184, v78, s5, -v188
	;; [unrolled: 2-line block ×5, first 2 shown]
	v_mul_f32_e32 v197, 0xbf763a35, v183
	v_add_f32_e32 v9, v184, v9
	v_fma_f32 v184, v109, s3, -v196
	v_add_f32_e32 v9, v184, v9
	v_fma_f32 v184, v123, s10, -v197
	v_add_f32_e32 v9, v184, v9
	v_mul_f32_e32 v184, 0xbe3c28d5, v25
	v_fma_f32 v25, v69, s15, -v184
	v_mul_f32_e32 v27, 0x3eb8f4ab, v27
	v_add_f32_e32 v25, v25, v16
	v_fma_f32 v185, v73, s2, -v27
	v_add_f32_e32 v25, v185, v25
	v_mul_f32_e32 v185, 0xbe3c28d5, v24
	v_mov_b32_e32 v24, v185
	v_mul_f32_e32 v186, 0x3eb8f4ab, v26
	v_fmac_f32_e32 v24, 0xbf7ba420, v70
	v_mov_b32_e32 v26, v186
	v_add_f32_e32 v24, v24, v17
	v_fmac_f32_e32 v26, 0x3f6eb680, v74
	v_add_f32_e32 v24, v26, v24
	v_mul_f32_e32 v26, 0xbf06c442, v85
	v_fma_f32 v85, v77, s14, -v26
	v_mul_f32_e32 v64, 0xbf06c442, v64
	v_add_f32_e32 v25, v85, v25
	v_mov_b32_e32 v85, v64
	v_fmac_f32_e32 v85, 0xbf59a7d5, v78
	v_add_f32_e32 v24, v85, v24
	v_mul_f32_e32 v85, 0x3f2c7751, v92
	v_fma_f32 v92, v80, s3, -v85
	v_add_f32_e32 v25, v92, v25
	v_mul_f32_e32 v92, 0x3f2c7751, v95
	v_mov_b32_e32 v95, v92
	v_fmac_f32_e32 v95, 0x3f3d2fb0, v81
	v_add_f32_e32 v24, v95, v24
	v_mul_f32_e32 v95, 0xbf4c4adb, v110
	v_fma_f32 v110, v84, s11, -v95
	v_add_f32_e32 v25, v110, v25
	v_mul_f32_e32 v110, 0xbf4c4adb, v111
	;; [unrolled: 7-line block ×4, first 2 shown]
	v_fmac_f32_e32 v187, 0x3dbcf732, v77
	v_mov_b32_e32 v181, v180
	v_mul_f32_e32 v183, 0x3f7ee86f, v183
	v_add_f32_e32 v8, v187, v8
	v_fmac_f32_e32 v181, 0xbe8c1d8e, v109
	v_mul_f32_e32 v182, 0x3f7ee86f, v182
	v_mov_b32_e32 v187, v183
	v_add_f32_e32 v181, v181, v24
	v_fmac_f32_e32 v187, 0x3dbcf732, v123
	v_fma_f32 v24, v120, s5, -v182
	v_fmac_f32_e32 v184, 0xbf7ba420, v69
	v_add_f32_e32 v24, v24, v25
	v_add_f32_e32 v25, v187, v181
	;; [unrolled: 1-line block ×3, first 2 shown]
	v_fmac_f32_e32 v27, 0x3f6eb680, v73
	v_add_f32_e32 v27, v27, v181
	v_fmac_f32_e32 v26, 0xbf59a7d5, v77
	v_add_f32_e32 v26, v26, v27
	v_fmac_f32_e32 v85, 0x3f3d2fb0, v80
	v_fma_f32 v27, v70, s15, -v185
	v_add_f32_e32 v26, v85, v26
	v_add_f32_e32 v27, v27, v17
	v_fma_f32 v85, v74, s2, -v186
	v_add_f32_e32 v27, v85, v27
	v_fma_f32 v64, v78, s14, -v64
	v_fmac_f32_e32 v189, 0xbf1a4643, v80
	v_add_f32_e32 v27, v64, v27
	v_fma_f32 v64, v81, s3, -v92
	v_add_f32_e32 v8, v189, v8
	v_fmac_f32_e32 v191, 0x3f6eb680, v84
	v_fmac_f32_e32 v95, 0xbf1a4643, v84
	v_add_f32_e32 v27, v64, v27
	v_fma_f32 v64, v86, s11, -v110
	v_add_f32_e32 v8, v191, v8
	v_fmac_f32_e32 v193, 0xbf7ba420, v90
	v_add_f32_e32 v26, v95, v26
	v_fmac_f32_e32 v111, 0x3ee437d1, v90
	v_add_f32_e32 v27, v64, v27
	v_fma_f32 v64, v94, s4, -v130
	v_mov_b32_e32 v198, v197
	v_add_f32_e32 v8, v193, v8
	v_fmac_f32_e32 v195, 0x3f3d2fb0, v108
	v_add_f32_e32 v26, v111, v26
	v_fmac_f32_e32 v131, 0xbe8c1d8e, v108
	v_add_f32_e32 v27, v64, v27
	v_fma_f32 v64, v109, s10, -v180
	v_fmac_f32_e32 v198, 0xbe8c1d8e, v123
	v_add_f32_e32 v8, v195, v8
	v_fmac_f32_e32 v199, 0xbe8c1d8e, v120
	v_add_f32_e32 v26, v131, v26
	;; [unrolled: 2-line block ×3, first 2 shown]
	v_fma_f32 v64, v123, s5, -v183
	v_add_f32_e32 v15, v198, v15
	v_add_f32_e32 v8, v199, v8
	;; [unrolled: 1-line block ×4, first 2 shown]
	v_mul_lo_u16_e32 v64, 17, v59
	s_barrier
	s_and_saveexec_b64 s[2:3], vcc
	s_cbranch_execz .LBB0_7
; %bb.6:
	v_mul_f32_e32 v92, 0x3f6eb680, v69
	v_mul_f32_e32 v110, 0x3f3d2fb0, v69
	;; [unrolled: 1-line block ×18, first 2 shown]
	v_sub_f32_e32 v69, v69, v164
	v_mul_f32_e32 v184, 0x3f3d2fb0, v74
	v_mul_f32_e32 v186, 0x3dbcf732, v74
	;; [unrolled: 1-line block ×12, first 2 shown]
	v_add_f32_e32 v70, v169, v70
	v_add_f32_e32 v69, v69, v16
	v_sub_f32_e32 v73, v73, v165
	v_mul_f32_e32 v194, 0x3ee437d1, v78
	v_mul_f32_e32 v196, 0xbf1a4643, v78
	v_mul_f32_e32 v198, 0xbf7ba420, v78
	v_mul_f32_e32 v200, 0xbe8c1d8e, v78
	v_mul_f32_e32 v202, 0x3f3d2fb0, v78
	v_mul_f32_e32 v78, 0x3f6eb680, v78
	v_mul_f32_e32 v203, 0x3dbcf732, v80
	v_mul_f32_e32 v205, 0xbf7ba420, v80
	v_mul_f32_e32 v207, 0xbe8c1d8e, v80
	v_mul_f32_e32 v209, 0x3f6eb680, v80
	v_mul_f32_e32 v211, 0x3ee437d1, v80
	v_mul_f32_e32 v80, 0xbf59a7d5, v80
	v_add_f32_e32 v70, v70, v17
	v_add_f32_e32 v74, v170, v74
	v_add_f32_e32 v69, v73, v69
	v_sub_f32_e32 v73, v77, v166
	v_mul_f32_e32 v204, 0x3dbcf732, v81
	v_mul_f32_e32 v206, 0xbf7ba420, v81
	v_mul_f32_e32 v208, 0xbe8c1d8e, v81
	v_mul_f32_e32 v210, 0x3f6eb680, v81
	v_mul_f32_e32 v212, 0x3ee437d1, v81
	v_mul_f32_e32 v81, 0xbf59a7d5, v81
	v_mul_f32_e32 v213, 0xbe8c1d8e, v84
	v_mul_f32_e32 v215, 0xbf59a7d5, v84
	v_mul_f32_e32 v217, 0x3f3d2fb0, v84
	v_mul_f32_e32 v219, 0x3ee437d1, v84
	v_mul_f32_e32 v221, 0xbf7ba420, v84
	v_mul_f32_e32 v84, 0x3dbcf732, v84
	v_add_f32_e32 v70, v74, v70
	;; [unrolled: 16-line block ×5, first 2 shown]
	v_add_f32_e32 v74, v177, v94
	v_add_f32_e32 v69, v73, v69
	v_sub_f32_e32 v73, v108, v173
	v_mul_f32_e32 v244, 0xbf7ba420, v123
	v_mul_f32_e32 v246, 0x3f6eb680, v123
	;; [unrolled: 1-line block ×6, first 2 shown]
	v_add_f32_e32 v70, v74, v70
	v_add_f32_e32 v74, v178, v109
	;; [unrolled: 1-line block ×3, first 2 shown]
	v_sub_f32_e32 v73, v120, v175
	v_add_f32_e32 v70, v74, v70
	v_add_f32_e32 v74, v179, v123
	;; [unrolled: 1-line block ×20, first 2 shown]
	v_sub_f32_e32 v73, v181, v148
	v_add_f32_e32 v73, v73, v16
	v_sub_f32_e32 v77, v191, v149
	v_add_f32_e32 v73, v77, v73
	v_sub_f32_e32 v77, v201, v150
	v_add_f32_e32 v73, v77, v73
	v_sub_f32_e32 v77, v211, v151
	v_add_f32_e32 v73, v77, v73
	v_sub_f32_e32 v77, v221, v152
	v_add_f32_e32 v73, v77, v73
	v_sub_f32_e32 v77, v231, v153
	v_add_f32_e32 v73, v77, v73
	v_sub_f32_e32 v77, v241, v154
	v_add_f32_e32 v73, v77, v73
	v_sub_f32_e32 v77, v251, v155
	v_add_f32_e32 v73, v77, v73
	v_add_f32_e32 v77, v137, v180
	v_add_f32_e32 v77, v77, v17
	v_add_f32_e32 v78, v138, v190
	v_add_f32_e32 v77, v78, v77
	v_add_f32_e32 v78, v140, v200
	v_add_f32_e32 v77, v78, v77
	v_add_f32_e32 v78, v142, v210
	v_add_f32_e32 v77, v78, v77
	v_add_f32_e32 v78, v144, v220
	v_add_f32_e32 v77, v78, v77
	v_add_f32_e32 v78, v145, v230
	v_add_f32_e32 v77, v78, v77
	v_add_f32_e32 v78, v146, v240
	v_add_f32_e32 v77, v78, v77
	v_add_f32_e32 v78, v147, v250
	v_add_f32_e32 v78, v78, v77
	v_sub_f32_e32 v77, v131, v132
	v_add_f32_e32 v77, v77, v16
	v_sub_f32_e32 v80, v189, v133
	v_add_f32_e32 v77, v80, v77
	v_sub_f32_e32 v80, v199, v134
	v_add_f32_e32 v77, v80, v77
	v_sub_f32_e32 v80, v209, v135
	v_add_f32_e32 v77, v80, v77
	v_sub_f32_e32 v80, v219, v136
	v_add_f32_e32 v77, v80, v77
	v_sub_f32_e32 v80, v229, v139
	v_add_f32_e32 v77, v80, v77
	v_sub_f32_e32 v80, v239, v141
	v_add_f32_e32 v77, v80, v77
	v_sub_f32_e32 v80, v249, v143
	v_add_f32_e32 v77, v80, v77
	v_add_f32_e32 v80, v121, v130
	v_add_f32_e32 v80, v80, v17
	v_add_f32_e32 v81, v122, v188
	v_add_f32_e32 v80, v81, v80
	v_add_f32_e32 v81, v124, v198
	v_add_f32_e32 v80, v81, v80
	v_add_f32_e32 v81, v125, v208
	v_add_f32_e32 v80, v81, v80
	v_add_f32_e32 v81, v126, v218
	v_add_f32_e32 v80, v81, v80
	v_add_f32_e32 v81, v127, v228
	v_add_f32_e32 v80, v81, v80
	v_add_f32_e32 v81, v128, v238
	v_add_f32_e32 v80, v81, v80
	v_add_f32_e32 v81, v129, v248
	v_add_f32_e32 v81, v81, v80
	;; [unrolled: 32-line block ×3, first 2 shown]
	v_sub_f32_e32 v84, v110, v88
	v_add_f32_e32 v57, v57, v95
	v_sub_f32_e32 v56, v92, v56
	v_add_f32_e32 v84, v84, v16
	v_add_f32_e32 v57, v57, v17
	;; [unrolled: 1-line block ×20, first 2 shown]
	v_sub_f32_e32 v58, v183, v58
	v_add_f32_e32 v17, v23, v17
	v_add_f32_e32 v16, v22, v16
	v_sub_f32_e32 v86, v185, v89
	v_add_f32_e32 v57, v63, v57
	v_add_f32_e32 v63, v66, v194
	v_add_f32_e32 v56, v58, v56
	v_sub_f32_e32 v58, v193, v65
	v_add_f32_e32 v17, v29, v17
	;; [unrolled: 4-line block ×13, first 2 shown]
	v_add_f32_e32 v56, v58, v56
	v_add_f32_e32 v13, v13, v17
	;; [unrolled: 1-line block ×3, first 2 shown]
	v_add_lshl_u32 v16, v55, v64, 3
	v_add_f32_e32 v84, v86, v84
	ds_write2_b64 v16, v[12:13], v[56:57] offset1:1
	ds_write2_b64 v16, v[84:85], v[80:81] offset0:2 offset1:3
	ds_write2_b64 v16, v[77:78], v[73:74] offset0:4 offset1:5
	ds_write2_b64 v16, v[69:70], v[14:15] offset0:6 offset1:7
	ds_write2_b64 v16, v[24:25], v[26:27] offset0:8 offset1:9
	ds_write2_b64 v16, v[8:9], v[10:11] offset0:10 offset1:11
	ds_write2_b64 v16, v[4:5], v[6:7] offset0:12 offset1:13
	ds_write2_b64 v16, v[0:1], v[2:3] offset0:14 offset1:15
	ds_write_b64 v16, v[53:54] offset:128
.LBB0_7:
	s_or_b64 exec, exec, s[2:3]
	v_mul_u32_u24_e32 v12, 6, v59
	v_lshlrev_b32_e32 v12, 3, v12
	s_load_dwordx4 s[0:3], s[0:1], 0x0
	s_waitcnt lgkmcnt(0)
	s_barrier
	global_load_dwordx4 v[28:31], v12, s[8:9]
	global_load_dwordx4 v[20:23], v12, s[8:9] offset:16
	global_load_dwordx4 v[16:19], v12, s[8:9] offset:32
	v_add_lshl_u32 v65, v55, v59, 3
	ds_read2_b64 v[32:35], v65 offset1:17
	ds_read2_b64 v[36:39], v65 offset0:34 offset1:51
	ds_read2_b64 v[40:43], v65 offset0:68 offset1:85
	ds_read_b64 v[12:13], v65 offset:816
	s_mov_b32 s4, 0x3f5ff5aa
	s_mov_b32 s5, 0x3f3bfb3b
	;; [unrolled: 1-line block ×3, first 2 shown]
	v_lshl_add_u32 v63, v59, 3, v62
	s_waitcnt vmcnt(2) lgkmcnt(3)
	v_mul_f32_e32 v44, v35, v29
	v_mul_f32_e32 v45, v34, v29
	s_waitcnt lgkmcnt(2)
	v_mul_f32_e32 v46, v37, v31
	s_waitcnt vmcnt(1)
	v_mul_f32_e32 v48, v39, v21
	s_waitcnt vmcnt(0) lgkmcnt(1)
	v_mul_f32_e32 v55, v43, v17
	s_waitcnt lgkmcnt(0)
	v_mul_f32_e32 v57, v13, v19
	v_mul_f32_e32 v47, v36, v31
	;; [unrolled: 1-line block ×6, first 2 shown]
	v_fma_f32 v34, v34, v28, -v44
	v_fmac_f32_e32 v45, v35, v28
	v_fma_f32 v35, v36, v30, -v46
	v_fma_f32 v36, v38, v20, -v48
	;; [unrolled: 1-line block ×4, first 2 shown]
	v_mul_f32_e32 v51, v40, v23
	v_fmac_f32_e32 v47, v37, v30
	v_fma_f32 v37, v40, v22, -v50
	v_fmac_f32_e32 v56, v43, v16
	v_fmac_f32_e32 v58, v13, v18
	v_add_f32_e32 v13, v34, v12
	v_add_f32_e32 v40, v35, v38
	v_fmac_f32_e32 v49, v39, v20
	v_fmac_f32_e32 v51, v41, v22
	v_add_f32_e32 v39, v45, v58
	v_add_f32_e32 v41, v47, v56
	;; [unrolled: 1-line block ×4, first 2 shown]
	v_sub_f32_e32 v12, v34, v12
	v_sub_f32_e32 v34, v45, v58
	;; [unrolled: 1-line block ×4, first 2 shown]
	v_add_f32_e32 v43, v49, v51
	v_sub_f32_e32 v36, v37, v36
	v_sub_f32_e32 v37, v51, v49
	v_add_f32_e32 v45, v41, v39
	v_sub_f32_e32 v46, v40, v13
	v_sub_f32_e32 v13, v13, v42
	;; [unrolled: 1-line block ×3, first 2 shown]
	v_add_f32_e32 v42, v42, v44
	v_sub_f32_e32 v47, v41, v39
	v_sub_f32_e32 v39, v39, v43
	v_sub_f32_e32 v41, v43, v41
	v_add_f32_e32 v48, v36, v35
	v_add_f32_e32 v49, v37, v38
	v_sub_f32_e32 v50, v36, v35
	v_sub_f32_e32 v51, v37, v38
	v_add_f32_e32 v43, v43, v45
	v_add_f32_e32 v32, v32, v42
	v_sub_f32_e32 v36, v12, v36
	v_sub_f32_e32 v37, v34, v37
	;; [unrolled: 1-line block ×4, first 2 shown]
	v_add_f32_e32 v12, v48, v12
	v_add_f32_e32 v34, v49, v34
	v_mul_f32_e32 v13, 0x3f4a47b2, v13
	v_mul_f32_e32 v39, 0x3f4a47b2, v39
	;; [unrolled: 1-line block ×5, first 2 shown]
	v_add_f32_e32 v33, v33, v43
	v_mov_b32_e32 v55, v32
	v_mul_f32_e32 v45, 0x3d64c772, v41
	v_mul_f32_e32 v50, 0x3f5ff5aa, v35
	;; [unrolled: 1-line block ×3, first 2 shown]
	v_fma_f32 v44, v46, s5, -v44
	v_fma_f32 v46, v46, s8, -v13
	v_mov_b32_e32 v56, v33
	v_fmac_f32_e32 v55, 0xbf955555, v42
	v_fmac_f32_e32 v13, 0x3d64c772, v40
	v_fma_f32 v40, v47, s8, -v39
	v_fmac_f32_e32 v39, 0x3d64c772, v41
	v_fma_f32 v41, v35, s4, -v48
	v_fma_f32 v42, v38, s4, -v49
	s_mov_b32 s4, 0xbeae86e6
	v_fma_f32 v45, v47, s5, -v45
	v_fmac_f32_e32 v56, 0xbf955555, v43
	v_fmac_f32_e32 v48, 0x3eae86e6, v36
	;; [unrolled: 1-line block ×3, first 2 shown]
	v_fma_f32 v43, v36, s4, -v50
	v_fma_f32 v47, v37, s4, -v51
	v_add_f32_e32 v13, v13, v55
	v_add_f32_e32 v50, v39, v56
	v_add_f32_e32 v44, v44, v55
	v_add_f32_e32 v45, v45, v56
	v_add_f32_e32 v46, v46, v55
	v_add_f32_e32 v51, v40, v56
	v_fmac_f32_e32 v48, 0x3ee1c552, v12
	v_fmac_f32_e32 v49, 0x3ee1c552, v34
	;; [unrolled: 1-line block ×6, first 2 shown]
	v_add_f32_e32 v34, v49, v13
	v_sub_f32_e32 v35, v50, v48
	v_add_f32_e32 v36, v47, v46
	v_sub_f32_e32 v37, v51, v43
	v_sub_f32_e32 v38, v44, v42
	v_add_f32_e32 v39, v41, v45
	v_add_f32_e32 v40, v42, v44
	v_sub_f32_e32 v41, v45, v41
	v_sub_f32_e32 v42, v46, v47
	v_add_f32_e32 v43, v43, v51
	v_sub_f32_e32 v12, v13, v49
	v_add_f32_e32 v13, v48, v50
	ds_write2_b64 v63, v[32:33], v[34:35] offset1:17
	ds_write2_b64 v63, v[36:37], v[38:39] offset0:34 offset1:51
	ds_write2_b64 v63, v[40:41], v[42:43] offset0:68 offset1:85
	ds_write_b64 v63, v[12:13] offset:816
	s_waitcnt lgkmcnt(0)
	s_barrier
	s_and_saveexec_b64 s[4:5], vcc
	s_cbranch_execz .LBB0_9
; %bb.8:
	global_load_dwordx2 v[82:83], v60, s[6:7] offset:952
	s_add_u32 s8, s6, 0x3b8
	s_addc_u32 s9, s7, 0
	global_load_dwordx2 v[84:85], v60, s[8:9] offset:56
	global_load_dwordx2 v[86:87], v60, s[8:9] offset:112
	;; [unrolled: 1-line block ×15, first 2 shown]
	ds_read2_b64 v[44:47], v63 offset1:7
	ds_read2_b64 v[48:51], v63 offset0:14 offset1:21
	global_load_dwordx2 v[114:115], v60, s[8:9] offset:896
	ds_read2_b64 v[55:58], v63 offset0:28 offset1:35
	ds_read2_b64 v[66:69], v63 offset0:42 offset1:49
	;; [unrolled: 1-line block ×5, first 2 shown]
	s_waitcnt vmcnt(13) lgkmcnt(5)
	v_mul_f32_e32 v118, v51, v89
	s_waitcnt vmcnt(12) lgkmcnt(4)
	v_mul_f32_e32 v119, v56, v91
	s_waitcnt vmcnt(11)
	v_mul_f32_e32 v120, v58, v93
	s_waitcnt vmcnt(10) lgkmcnt(3)
	v_mul_f32_e32 v121, v67, v95
	s_waitcnt vmcnt(9)
	;; [unrolled: 4-line block ×4, first 2 shown]
	v_mul_f32_e32 v126, v77, v105
	v_mul_f32_e32 v116, v45, v83
	;; [unrolled: 1-line block ×3, first 2 shown]
	v_fma_f32 v116, v44, v82, -v116
	v_fmac_f32_e32 v117, v45, v82
	v_mul_f32_e32 v44, v47, v85
	v_mul_f32_e32 v45, v46, v85
	;; [unrolled: 1-line block ×13, first 2 shown]
	v_fma_f32 v44, v46, v84, -v44
	v_fmac_f32_e32 v45, v47, v84
	v_fma_f32 v82, v48, v86, -v82
	v_fmac_f32_e32 v83, v49, v86
	v_fma_f32 v84, v50, v88, -v118
	v_fmac_f32_e32 v85, v51, v88
	v_fma_f32 v86, v55, v90, -v119
	v_fmac_f32_e32 v87, v56, v90
	v_fma_f32 v88, v57, v92, -v120
	v_fmac_f32_e32 v89, v58, v92
	v_fma_f32 v90, v66, v94, -v121
	v_fmac_f32_e32 v91, v67, v94
	v_fma_f32 v92, v68, v96, -v122
	v_fmac_f32_e32 v93, v69, v96
	v_fma_f32 v94, v70, v98, -v123
	v_fmac_f32_e32 v95, v71, v98
	v_fma_f32 v96, v72, v100, -v124
	v_fmac_f32_e32 v97, v73, v100
	v_fma_f32 v98, v74, v102, -v125
	v_fmac_f32_e32 v99, v75, v102
	v_fma_f32 v100, v76, v104, -v126
	v_fmac_f32_e32 v101, v77, v104
	ds_write2_b64 v63, v[116:117], v[44:45] offset1:7
	ds_write2_b64 v63, v[82:83], v[84:85] offset0:14 offset1:21
	ds_write2_b64 v63, v[86:87], v[88:89] offset0:28 offset1:35
	ds_write2_b64 v63, v[90:91], v[92:93] offset0:42 offset1:49
	ds_write2_b64 v63, v[94:95], v[96:97] offset0:56 offset1:63
	ds_write2_b64 v63, v[98:99], v[100:101] offset0:70 offset1:77
	ds_read2_b64 v[44:47], v63 offset0:98 offset1:105
	s_waitcnt vmcnt(4) lgkmcnt(7)
	v_mul_f32_e32 v105, v79, v107
	v_mul_f32_e32 v103, v78, v107
	s_waitcnt vmcnt(3)
	v_mul_f32_e32 v107, v81, v109
	v_mul_f32_e32 v49, v80, v109
	v_fma_f32 v102, v78, v106, -v105
	v_fmac_f32_e32 v103, v79, v106
	v_fma_f32 v48, v80, v108, -v107
	v_fmac_f32_e32 v49, v81, v108
	ds_write2_b64 v63, v[102:103], v[48:49] offset0:84 offset1:91
	s_waitcnt vmcnt(2) lgkmcnt(1)
	v_mul_f32_e32 v48, v45, v111
	v_mul_f32_e32 v49, v44, v111
	v_fma_f32 v48, v44, v110, -v48
	v_fmac_f32_e32 v49, v45, v110
	ds_read_b64 v[44:45], v63 offset:896
	s_waitcnt vmcnt(1)
	v_mul_f32_e32 v50, v47, v113
	v_mul_f32_e32 v51, v46, v113
	v_fma_f32 v50, v46, v112, -v50
	v_fmac_f32_e32 v51, v47, v112
	s_waitcnt vmcnt(0) lgkmcnt(0)
	v_mul_f32_e32 v46, v45, v115
	v_mul_f32_e32 v47, v44, v115
	v_fma_f32 v46, v44, v114, -v46
	v_fmac_f32_e32 v47, v45, v114
	ds_write2_b64 v63, v[48:49], v[50:51] offset0:98 offset1:105
	ds_write_b64 v63, v[46:47] offset:896
.LBB0_9:
	s_or_b64 exec, exec, s[4:5]
	s_waitcnt lgkmcnt(0)
	s_barrier
	s_and_saveexec_b64 s[4:5], vcc
	s_cbranch_execz .LBB0_11
; %bb.10:
	ds_read2_b64 v[32:35], v63 offset1:7
	ds_read2_b64 v[36:39], v63 offset0:14 offset1:21
	ds_read2_b64 v[40:43], v63 offset0:28 offset1:35
	;; [unrolled: 1-line block ×7, first 2 shown]
	ds_read_b64 v[53:54], v63 offset:896
.LBB0_11:
	s_or_b64 exec, exec, s[4:5]
	s_waitcnt lgkmcnt(0)
	s_barrier
	s_and_saveexec_b64 s[4:5], vcc
	s_cbranch_execz .LBB0_13
; %bb.12:
	v_add_f32_e32 v108, v54, v35
	v_mul_f32_e32 v82, 0xbf7ba420, v108
	v_add_f32_e32 v109, v3, v37
	v_sub_f32_e32 v66, v34, v53
	v_mov_b32_e32 v44, v82
	v_mul_f32_e32 v83, 0x3f6eb680, v109
	v_fmac_f32_e32 v44, 0x3e3c28d5, v66
	v_sub_f32_e32 v67, v36, v2
	v_mov_b32_e32 v45, v83
	v_add_f32_e32 v110, v1, v39
	v_add_f32_e32 v44, v33, v44
	v_fmac_f32_e32 v45, 0xbeb8f4ab, v67
	v_mul_f32_e32 v84, 0xbf59a7d5, v110
	v_add_f32_e32 v44, v45, v44
	v_sub_f32_e32 v68, v38, v0
	v_mov_b32_e32 v45, v84
	v_add_f32_e32 v111, v7, v41
	v_fmac_f32_e32 v45, 0x3f06c442, v68
	v_mul_f32_e32 v85, 0x3f3d2fb0, v111
	v_add_f32_e32 v44, v45, v44
	v_sub_f32_e32 v69, v40, v6
	v_mov_b32_e32 v45, v85
	;; [unrolled: 6-line block ×6, first 2 shown]
	v_sub_f32_e32 v116, v35, v54
	v_fmac_f32_e32 v45, 0xbf7ee86f, v73
	v_mul_f32_e32 v90, 0xbe3c28d5, v116
	v_sub_f32_e32 v117, v37, v3
	v_add_f32_e32 v45, v45, v44
	v_add_f32_e32 v74, v53, v34
	v_mov_b32_e32 v44, v90
	v_mul_f32_e32 v91, 0x3eb8f4ab, v117
	v_fmac_f32_e32 v44, 0xbf7ba420, v74
	v_add_f32_e32 v75, v2, v36
	v_mov_b32_e32 v46, v91
	v_sub_f32_e32 v118, v39, v1
	v_add_f32_e32 v44, v32, v44
	v_fmac_f32_e32 v46, 0x3f6eb680, v75
	v_mul_f32_e32 v92, 0xbf06c442, v118
	v_add_f32_e32 v44, v46, v44
	v_add_f32_e32 v76, v0, v38
	v_mov_b32_e32 v46, v92
	v_sub_f32_e32 v119, v41, v7
	v_fmac_f32_e32 v46, 0xbf59a7d5, v76
	v_mul_f32_e32 v93, 0x3f2c7751, v119
	v_add_f32_e32 v44, v46, v44
	v_add_f32_e32 v77, v6, v40
	v_mov_b32_e32 v46, v93
	v_sub_f32_e32 v120, v43, v5
	;; [unrolled: 6-line block ×5, first 2 shown]
	v_fmac_f32_e32 v46, 0xbe8c1d8e, v80
	v_mul_f32_e32 v97, 0x3f7ee86f, v123
	v_add_f32_e32 v44, v46, v44
	v_add_f32_e32 v81, v26, v24
	v_mov_b32_e32 v46, v97
	v_fmac_f32_e32 v46, 0x3dbcf732, v81
	v_mul_f32_e32 v98, 0xbf59a7d5, v108
	v_add_f32_e32 v44, v46, v44
	v_mov_b32_e32 v46, v98
	v_mul_f32_e32 v99, 0x3ee437d1, v109
	v_fmac_f32_e32 v46, 0x3f06c442, v66
	v_mov_b32_e32 v47, v99
	v_add_f32_e32 v46, v33, v46
	v_fmac_f32_e32 v47, 0xbf65296c, v67
	v_mul_f32_e32 v100, 0x3dbcf732, v110
	v_add_f32_e32 v46, v47, v46
	v_mov_b32_e32 v47, v100
	v_fmac_f32_e32 v47, 0x3f7ee86f, v68
	v_mul_f32_e32 v101, 0xbf1a4643, v111
	v_add_f32_e32 v46, v47, v46
	v_mov_b32_e32 v47, v101
	v_fmac_f32_e32 v47, 0xbf4c4adb, v69
	v_mul_f32_e32 v102, 0x3f6eb680, v112
	v_add_f32_e32 v46, v47, v46
	v_mov_b32_e32 v47, v102
	v_fmac_f32_e32 v47, 0x3eb8f4ab, v70
	v_mul_f32_e32 v103, 0xbf7ba420, v113
	v_add_f32_e32 v46, v47, v46
	v_mov_b32_e32 v47, v103
	v_fmac_f32_e32 v47, 0x3e3c28d5, v71
	v_mul_f32_e32 v104, 0x3f3d2fb0, v114
	v_add_f32_e32 v46, v47, v46
	v_mov_b32_e32 v47, v104
	v_fmac_f32_e32 v47, 0xbf2c7751, v72
	v_mul_f32_e32 v105, 0xbe8c1d8e, v115
	v_add_f32_e32 v46, v47, v46
	v_mov_b32_e32 v47, v105
	v_fmac_f32_e32 v47, 0x3f763a35, v73
	v_mul_f32_e32 v124, 0xbf06c442, v116
	v_add_f32_e32 v47, v47, v46
	v_mov_b32_e32 v46, v124
	v_mul_f32_e32 v125, 0x3f65296c, v117
	v_fmac_f32_e32 v46, 0xbf59a7d5, v74
	v_mov_b32_e32 v48, v125
	v_add_f32_e32 v46, v32, v46
	v_fmac_f32_e32 v48, 0x3ee437d1, v75
	v_mul_f32_e32 v126, 0xbf7ee86f, v118
	v_add_f32_e32 v46, v48, v46
	v_mov_b32_e32 v48, v126
	v_fmac_f32_e32 v48, 0x3dbcf732, v76
	v_mul_f32_e32 v127, 0x3f4c4adb, v119
	v_add_f32_e32 v46, v48, v46
	v_mov_b32_e32 v48, v127
	v_fmac_f32_e32 v48, 0xbf1a4643, v77
	v_mul_f32_e32 v128, 0xbeb8f4ab, v120
	v_add_f32_e32 v46, v48, v46
	v_mov_b32_e32 v48, v128
	v_fmac_f32_e32 v48, 0x3f6eb680, v78
	v_mul_f32_e32 v129, 0xbe3c28d5, v121
	v_add_f32_e32 v46, v48, v46
	v_mov_b32_e32 v48, v129
	v_fmac_f32_e32 v48, 0xbf7ba420, v79
	v_mul_f32_e32 v130, 0x3f2c7751, v122
	v_add_f32_e32 v46, v48, v46
	v_mov_b32_e32 v48, v130
	v_fmac_f32_e32 v48, 0x3f3d2fb0, v80
	v_mul_f32_e32 v131, 0xbf763a35, v123
	;; [unrolled: 32-line block ×4, first 2 shown]
	v_add_f32_e32 v48, v50, v48
	v_mov_b32_e32 v50, v147
	v_fmac_f32_e32 v50, 0x3ee437d1, v81
	v_mul_f32_e32 v148, 0xbe8c1d8e, v108
	v_add_f32_e32 v48, v50, v48
	v_mov_b32_e32 v50, v148
	v_mul_f32_e32 v149, 0xbf59a7d5, v109
	v_fmac_f32_e32 v50, 0x3f763a35, v66
	v_mov_b32_e32 v51, v149
	v_add_f32_e32 v50, v33, v50
	v_fmac_f32_e32 v51, 0xbf06c442, v67
	v_mul_f32_e32 v150, 0x3f3d2fb0, v110
	v_add_f32_e32 v50, v51, v50
	v_mov_b32_e32 v51, v150
	v_fmac_f32_e32 v51, 0xbf2c7751, v68
	v_mul_f32_e32 v151, 0x3ee437d1, v111
	v_add_f32_e32 v50, v51, v50
	v_mov_b32_e32 v51, v151
	;; [unrolled: 4-line block ×4, first 2 shown]
	v_add_f32_e32 v35, v35, v33
	v_fmac_f32_e32 v51, 0xbf7ee86f, v71
	v_mul_f32_e32 v154, 0x3f6eb680, v114
	v_add_f32_e32 v35, v37, v35
	v_add_f32_e32 v50, v51, v50
	v_mov_b32_e32 v51, v154
	v_add_f32_e32 v35, v39, v35
	v_fmac_f32_e32 v51, 0x3eb8f4ab, v72
	v_mul_f32_e32 v155, 0xbf1a4643, v115
	v_add_f32_e32 v35, v41, v35
	v_add_f32_e32 v50, v51, v50
	v_mov_b32_e32 v51, v155
	;; [unrolled: 6-line block ×3, first 2 shown]
	v_mul_f32_e32 v157, 0x3f06c442, v117
	v_add_f32_e32 v13, v15, v13
	v_fmac_f32_e32 v50, 0xbe8c1d8e, v74
	v_mov_b32_e32 v55, v157
	v_add_f32_e32 v13, v25, v13
	v_add_f32_e32 v50, v32, v50
	v_fmac_f32_e32 v55, 0xbf59a7d5, v75
	v_mul_f32_e32 v158, 0x3f2c7751, v118
	v_add_f32_e32 v13, v27, v13
	v_add_f32_e32 v50, v55, v50
	v_mov_b32_e32 v55, v158
	v_add_f32_e32 v9, v9, v13
	v_fmac_f32_e32 v55, 0x3f3d2fb0, v76
	v_mul_f32_e32 v159, 0xbf65296c, v119
	v_add_f32_e32 v9, v11, v9
	v_add_f32_e32 v50, v55, v50
	v_mov_b32_e32 v55, v159
	;; [unrolled: 6-line block ×3, first 2 shown]
	v_add_f32_e32 v1, v1, v5
	v_fmac_f32_e32 v55, 0xbf7ba420, v78
	v_mul_f32_e32 v161, 0x3f7ee86f, v121
	v_add_f32_e32 v1, v3, v1
	v_add_f32_e32 v3, v34, v32
	;; [unrolled: 1-line block ×3, first 2 shown]
	v_mov_b32_e32 v55, v161
	v_add_f32_e32 v3, v36, v3
	v_fmac_f32_e32 v55, 0x3dbcf732, v79
	v_mul_f32_e32 v162, 0xbeb8f4ab, v122
	v_add_f32_e32 v3, v38, v3
	v_add_f32_e32 v50, v55, v50
	v_mov_b32_e32 v55, v162
	v_add_f32_e32 v3, v40, v3
	v_fmac_f32_e32 v55, 0x3f6eb680, v80
	v_mul_f32_e32 v163, 0xbf4c4adb, v123
	v_add_f32_e32 v3, v42, v3
	v_add_f32_e32 v50, v55, v50
	;; [unrolled: 6-line block ×3, first 2 shown]
	v_mov_b32_e32 v55, v164
	v_mul_f32_e32 v165, 0xbf7ba420, v109
	v_add_f32_e32 v3, v24, v3
	v_fmac_f32_e32 v55, 0x3f7ee86f, v66
	v_mov_b32_e32 v56, v165
	v_add_f32_e32 v3, v26, v3
	v_add_f32_e32 v55, v33, v55
	v_fmac_f32_e32 v56, 0x3e3c28d5, v67
	v_mul_f32_e32 v166, 0xbe8c1d8e, v110
	v_add_f32_e32 v3, v8, v3
	v_add_f32_e32 v55, v56, v55
	v_mov_b32_e32 v56, v166
	v_add_f32_e32 v3, v10, v3
	v_fmac_f32_e32 v56, 0xbf763a35, v68
	v_mul_f32_e32 v167, 0x3f6eb680, v111
	v_add_f32_e32 v3, v4, v3
	v_add_f32_e32 v55, v56, v55
	v_mov_b32_e32 v56, v167
	v_add_f32_e32 v3, v6, v3
	v_fmac_f32_e32 v56, 0xbeb8f4ab, v69
	v_mul_f32_e32 v168, 0x3ee437d1, v112
	v_add_f32_e32 v0, v0, v3
	v_fmac_f32_e32 v82, 0xbe3c28d5, v66
	v_add_f32_e32 v55, v56, v55
	v_mov_b32_e32 v56, v168
	v_add_f32_e32 v0, v2, v0
	v_add_f32_e32 v2, v33, v82
	v_fmac_f32_e32 v83, 0x3eb8f4ab, v67
	v_fmac_f32_e32 v56, 0x3f65296c, v70
	v_mul_f32_e32 v169, 0xbf59a7d5, v113
	v_add_f32_e32 v2, v83, v2
	v_fmac_f32_e32 v84, 0xbf06c442, v68
	v_add_f32_e32 v55, v56, v55
	v_mov_b32_e32 v56, v169
	v_add_f32_e32 v2, v84, v2
	v_fmac_f32_e32 v85, 0x3f2c7751, v69
	v_fmac_f32_e32 v56, 0x3f06c442, v71
	v_mul_f32_e32 v170, 0xbf1a4643, v114
	v_add_f32_e32 v2, v85, v2
	v_fmac_f32_e32 v86, 0xbf4c4adb, v70
	v_add_f32_e32 v55, v56, v55
	v_mov_b32_e32 v56, v170
	v_add_f32_e32 v2, v86, v2
	v_fmac_f32_e32 v87, 0x3f65296c, v71
	v_fmac_f32_e32 v56, 0xbf4c4adb, v72
	v_mul_f32_e32 v171, 0x3f3d2fb0, v115
	v_add_f32_e32 v2, v87, v2
	v_fmac_f32_e32 v88, 0xbf763a35, v72
	s_mov_b32 s8, 0xbf7ba420
	v_add_f32_e32 v55, v56, v55
	v_mov_b32_e32 v56, v171
	v_add_f32_e32 v2, v88, v2
	v_fmac_f32_e32 v89, 0x3f7ee86f, v73
	s_mov_b32 s10, 0x3f6eb680
	v_fmac_f32_e32 v56, 0xbf2c7751, v73
	v_mul_f32_e32 v172, 0xbf7ee86f, v116
	v_add_f32_e32 v3, v89, v2
	v_fma_f32 v2, v74, s8, -v90
	s_mov_b32 s9, 0xbf59a7d5
	v_add_f32_e32 v56, v56, v55
	v_mov_b32_e32 v55, v172
	v_mul_f32_e32 v173, 0xbe3c28d5, v117
	v_add_f32_e32 v2, v32, v2
	v_fma_f32 v4, v75, s10, -v91
	s_mov_b32 s14, 0x3f3d2fb0
	v_fmac_f32_e32 v55, 0x3dbcf732, v74
	v_mov_b32_e32 v57, v173
	v_add_f32_e32 v2, v4, v2
	v_fma_f32 v4, v76, s9, -v92
	v_add_f32_e32 v55, v32, v55
	v_fmac_f32_e32 v57, 0xbf7ba420, v75
	v_mul_f32_e32 v174, 0x3f763a35, v118
	v_add_f32_e32 v2, v4, v2
	v_fma_f32 v4, v77, s14, -v93
	s_mov_b32 s15, 0x3ee437d1
	v_add_f32_e32 v55, v57, v55
	v_mov_b32_e32 v57, v174
	v_add_f32_e32 v2, v4, v2
	v_fma_f32 v4, v78, s11, -v94
	s_mov_b32 s16, 0xbe8c1d8e
	v_fmac_f32_e32 v57, 0xbe8c1d8e, v76
	v_mul_f32_e32 v175, 0x3eb8f4ab, v119
	v_add_f32_e32 v2, v4, v2
	v_fma_f32 v4, v79, s15, -v95
	s_mov_b32 s17, 0x3dbcf732
	v_add_f32_e32 v55, v57, v55
	v_mov_b32_e32 v57, v175
	v_add_f32_e32 v2, v4, v2
	v_fma_f32 v4, v80, s16, -v96
	v_fmac_f32_e32 v57, 0x3f6eb680, v77
	v_mul_f32_e32 v176, 0xbf65296c, v120
	v_add_f32_e32 v2, v4, v2
	v_fma_f32 v4, v81, s17, -v97
	v_fmac_f32_e32 v98, 0xbf06c442, v66
	v_add_f32_e32 v55, v57, v55
	v_mov_b32_e32 v57, v176
	v_add_f32_e32 v2, v4, v2
	v_add_f32_e32 v4, v33, v98
	v_fmac_f32_e32 v99, 0x3f65296c, v67
	v_fmac_f32_e32 v57, 0x3ee437d1, v78
	v_mul_f32_e32 v177, 0xbf06c442, v121
	v_add_f32_e32 v4, v99, v4
	v_fmac_f32_e32 v100, 0xbf7ee86f, v68
	v_add_f32_e32 v55, v57, v55
	v_mov_b32_e32 v57, v177
	v_add_f32_e32 v4, v100, v4
	v_fmac_f32_e32 v101, 0x3f4c4adb, v69
	v_fmac_f32_e32 v57, 0xbf59a7d5, v79
	v_mul_f32_e32 v178, 0x3f4c4adb, v122
	v_add_f32_e32 v4, v101, v4
	v_fmac_f32_e32 v102, 0xbeb8f4ab, v70
	v_add_f32_e32 v55, v57, v55
	v_mov_b32_e32 v57, v178
	v_add_f32_e32 v4, v102, v4
	v_fmac_f32_e32 v103, 0xbe3c28d5, v71
	v_fmac_f32_e32 v57, 0xbf1a4643, v80
	v_mul_f32_e32 v179, 0x3f2c7751, v123
	v_add_f32_e32 v4, v103, v4
	v_fmac_f32_e32 v104, 0x3f2c7751, v72
	v_add_f32_e32 v55, v57, v55
	v_mov_b32_e32 v57, v179
	v_add_f32_e32 v4, v104, v4
	v_fmac_f32_e32 v105, 0xbf763a35, v73
	v_fmac_f32_e32 v57, 0x3f3d2fb0, v81
	v_mul_f32_e32 v180, 0x3ee437d1, v108
	v_add_f32_e32 v5, v105, v4
	v_fma_f32 v4, v74, s9, -v124
	v_add_f32_e32 v55, v57, v55
	v_mov_b32_e32 v57, v180
	v_mul_f32_e32 v181, 0xbf1a4643, v109
	v_add_f32_e32 v4, v32, v4
	v_fma_f32 v6, v75, s15, -v125
	v_fmac_f32_e32 v57, 0x3f65296c, v66
	v_mov_b32_e32 v58, v181
	v_add_f32_e32 v4, v6, v4
	v_fma_f32 v6, v76, s17, -v126
	v_add_f32_e32 v57, v33, v57
	v_fmac_f32_e32 v58, 0x3f4c4adb, v67
	v_mul_f32_e32 v182, 0xbf7ba420, v110
	v_add_f32_e32 v4, v6, v4
	v_fma_f32 v6, v77, s11, -v127
	v_add_f32_e32 v57, v58, v57
	v_mov_b32_e32 v58, v182
	v_add_f32_e32 v4, v6, v4
	v_fma_f32 v6, v78, s10, -v128
	v_fmac_f32_e32 v58, 0xbe3c28d5, v68
	v_mul_f32_e32 v183, 0xbe8c1d8e, v111
	v_add_f32_e32 v4, v6, v4
	v_fma_f32 v6, v79, s8, -v129
	v_add_f32_e32 v57, v58, v57
	v_mov_b32_e32 v58, v183
	v_add_f32_e32 v4, v6, v4
	v_fma_f32 v6, v80, s14, -v130
	v_fmac_f32_e32 v58, 0xbf763a35, v69
	v_mul_f32_e32 v184, 0x3f3d2fb0, v112
	v_add_f32_e32 v4, v6, v4
	v_fma_f32 v6, v81, s16, -v131
	v_fmac_f32_e32 v132, 0xbf4c4adb, v66
	v_add_f32_e32 v57, v58, v57
	v_mov_b32_e32 v58, v184
	v_add_f32_e32 v4, v6, v4
	v_add_f32_e32 v6, v33, v132
	v_fmac_f32_e32 v133, 0x3f763a35, v67
	v_fmac_f32_e32 v58, 0xbf2c7751, v70
	v_mul_f32_e32 v185, 0x3f6eb680, v113
	v_add_f32_e32 v6, v133, v6
	v_fmac_f32_e32 v134, 0xbeb8f4ab, v68
	v_add_f32_e32 v57, v58, v57
	v_mov_b32_e32 v58, v185
	v_add_f32_e32 v6, v134, v6
	v_fmac_f32_e32 v135, 0xbf06c442, v69
	v_fmac_f32_e32 v58, 0x3eb8f4ab, v71
	v_mul_f32_e32 v186, 0x3dbcf732, v114
	v_add_f32_e32 v6, v135, v6
	v_fmac_f32_e32 v136, 0x3f7ee86f, v70
	v_add_f32_e32 v57, v58, v57
	v_mov_b32_e32 v58, v186
	v_add_f32_e32 v6, v136, v6
	v_fmac_f32_e32 v137, 0xbf2c7751, v71
	v_fmac_f32_e32 v58, 0x3f7ee86f, v72
	v_mul_f32_e32 v187, 0xbf59a7d5, v115
	v_add_f32_e32 v6, v137, v6
	v_fmac_f32_e32 v138, 0xbe3c28d5, v72
	v_add_f32_e32 v57, v58, v57
	v_mov_b32_e32 v58, v187
	v_add_f32_e32 v6, v138, v6
	v_fmac_f32_e32 v139, 0x3f65296c, v73
	v_fmac_f32_e32 v58, 0x3f06c442, v73
	v_mul_f32_e32 v188, 0xbf65296c, v116
	v_add_f32_e32 v7, v139, v6
	v_fma_f32 v6, v74, s11, -v140
	v_add_f32_e32 v58, v58, v57
	v_mov_b32_e32 v57, v188
	v_mul_f32_e32 v189, 0xbf4c4adb, v117
	v_add_f32_e32 v6, v32, v6
	v_fma_f32 v8, v75, s16, -v141
	v_fmac_f32_e32 v57, 0x3ee437d1, v74
	v_mov_b32_e32 v106, v189
	v_add_f32_e32 v6, v8, v6
	v_fma_f32 v8, v76, s10, -v142
	v_add_f32_e32 v57, v32, v57
	v_fmac_f32_e32 v106, 0xbf1a4643, v75
	v_mul_f32_e32 v190, 0x3e3c28d5, v118
	v_add_f32_e32 v6, v8, v6
	v_fma_f32 v8, v77, s9, -v143
	v_add_f32_e32 v57, v106, v57
	v_mov_b32_e32 v106, v190
	v_add_f32_e32 v6, v8, v6
	v_fma_f32 v8, v78, s17, -v144
	v_fmac_f32_e32 v106, 0xbf7ba420, v76
	v_mul_f32_e32 v191, 0x3f763a35, v119
	v_add_f32_e32 v6, v8, v6
	v_fma_f32 v8, v79, s14, -v145
	;; [unrolled: 64-line block ×3, first 2 shown]
	v_add_f32_e32 v106, v107, v106
	v_mov_b32_e32 v107, v199
	v_add_f32_e32 v8, v10, v8
	v_fma_f32 v10, v80, s10, -v162
	v_fmac_f32_e32 v107, 0x3e3c28d5, v69
	v_mul_f32_e32 v200, 0xbf59a7d5, v112
	v_add_f32_e32 v8, v10, v8
	v_fma_f32 v10, v81, s11, -v163
	v_fmac_f32_e32 v164, 0xbf7ee86f, v66
	v_add_f32_e32 v106, v107, v106
	v_mov_b32_e32 v107, v200
	v_add_f32_e32 v8, v10, v8
	v_add_f32_e32 v10, v33, v164
	v_fmac_f32_e32 v165, 0xbe3c28d5, v67
	v_fmac_f32_e32 v107, 0xbf06c442, v70
	v_mul_f32_e32 v201, 0xbe8c1d8e, v113
	v_add_f32_e32 v10, v165, v10
	v_fmac_f32_e32 v166, 0x3f763a35, v68
	v_add_f32_e32 v106, v107, v106
	v_mov_b32_e32 v107, v201
	v_add_f32_e32 v10, v166, v10
	v_fmac_f32_e32 v167, 0x3eb8f4ab, v69
	v_fmac_f32_e32 v107, 0xbf763a35, v71
	v_mul_f32_e32 v202, 0x3ee437d1, v114
	v_add_f32_e32 v10, v167, v10
	v_fmac_f32_e32 v168, 0xbf65296c, v70
	v_add_f32_e32 v106, v107, v106
	v_mov_b32_e32 v107, v202
	;; [unrolled: 8-line block ×3, first 2 shown]
	v_add_f32_e32 v10, v170, v10
	v_fmac_f32_e32 v171, 0x3f2c7751, v73
	v_fmac_f32_e32 v107, 0xbeb8f4ab, v73
	v_mul_f32_e32 v204, 0xbf2c7751, v116
	v_add_f32_e32 v11, v171, v10
	v_fma_f32 v10, v74, s17, -v172
	v_add_f32_e32 v107, v107, v106
	v_mov_b32_e32 v106, v204
	v_mul_f32_e32 v205, 0xbf7ee86f, v117
	v_add_f32_e32 v10, v32, v10
	v_fma_f32 v12, v75, s8, -v173
	v_fmac_f32_e32 v106, 0x3f3d2fb0, v74
	v_mov_b32_e32 v206, v205
	v_add_f32_e32 v10, v12, v10
	v_fma_f32 v12, v76, s16, -v174
	v_add_f32_e32 v106, v32, v106
	v_fmac_f32_e32 v206, 0x3dbcf732, v75
	v_add_f32_e32 v10, v12, v10
	v_fma_f32 v12, v77, s10, -v175
	v_add_f32_e32 v106, v206, v106
	v_mul_f32_e32 v206, 0xbf4c4adb, v118
	v_add_f32_e32 v10, v12, v10
	v_fma_f32 v12, v78, s15, -v176
	v_mov_b32_e32 v207, v206
	v_add_f32_e32 v10, v12, v10
	v_fma_f32 v12, v79, s9, -v177
	v_fmac_f32_e32 v207, 0xbf1a4643, v76
	v_add_f32_e32 v10, v12, v10
	v_fma_f32 v12, v80, s11, -v178
	v_add_f32_e32 v106, v207, v106
	v_mul_f32_e32 v207, 0xbe3c28d5, v119
	v_add_f32_e32 v10, v12, v10
	v_fma_f32 v12, v81, s14, -v179
	v_fmac_f32_e32 v180, 0xbf65296c, v66
	v_mov_b32_e32 v208, v207
	v_add_f32_e32 v10, v12, v10
	v_add_f32_e32 v12, v33, v180
	v_fmac_f32_e32 v181, 0xbf4c4adb, v67
	v_fmac_f32_e32 v208, 0xbf7ba420, v77
	v_add_f32_e32 v12, v181, v12
	v_fmac_f32_e32 v182, 0x3e3c28d5, v68
	v_add_f32_e32 v106, v208, v106
	v_mul_f32_e32 v208, 0x3f06c442, v120
	v_add_f32_e32 v12, v182, v12
	v_fmac_f32_e32 v183, 0x3f763a35, v69
	v_mov_b32_e32 v209, v208
	v_add_f32_e32 v12, v183, v12
	v_fmac_f32_e32 v184, 0x3f2c7751, v70
	v_fmac_f32_e32 v209, 0xbf59a7d5, v78
	v_add_f32_e32 v12, v184, v12
	v_fmac_f32_e32 v185, 0xbeb8f4ab, v71
	v_add_f32_e32 v106, v209, v106
	v_mul_f32_e32 v209, 0x3f763a35, v121
	v_add_f32_e32 v12, v185, v12
	v_fmac_f32_e32 v186, 0xbf7ee86f, v72
	v_mov_b32_e32 v210, v209
	v_add_f32_e32 v12, v186, v12
	v_fmac_f32_e32 v187, 0xbf06c442, v73
	v_fmac_f32_e32 v210, 0xbe8c1d8e, v79
	v_add_f32_e32 v13, v187, v12
	v_fma_f32 v12, v74, s15, -v188
	v_add_f32_e32 v106, v210, v106
	v_mul_f32_e32 v210, 0x3f65296c, v122
	v_add_f32_e32 v12, v32, v12
	v_fma_f32 v14, v75, s11, -v189
	v_mov_b32_e32 v211, v210
	v_add_f32_e32 v12, v14, v12
	v_fma_f32 v14, v76, s8, -v190
	v_fmac_f32_e32 v211, 0x3ee437d1, v80
	v_add_f32_e32 v12, v14, v12
	v_fma_f32 v14, v77, s16, -v191
	v_add_f32_e32 v106, v211, v106
	v_mul_f32_e32 v211, 0x3eb8f4ab, v123
	v_add_f32_e32 v12, v14, v12
	v_fma_f32 v14, v78, s14, -v192
	v_mov_b32_e32 v212, v211
	v_add_f32_e32 v12, v14, v12
	v_fma_f32 v14, v79, s10, -v193
	v_fmac_f32_e32 v212, 0x3f6eb680, v81
	v_add_f32_e32 v12, v14, v12
	v_fma_f32 v14, v80, s17, -v194
	v_add_f32_e32 v106, v212, v106
	v_mul_f32_e32 v212, 0x3f6eb680, v108
	v_add_f32_e32 v12, v14, v12
	v_fma_f32 v14, v81, s9, -v195
	v_fmac_f32_e32 v196, 0xbf2c7751, v66
	v_mov_b32_e32 v108, v212
	v_mul_f32_e32 v213, 0x3f3d2fb0, v109
	v_add_f32_e32 v12, v14, v12
	v_add_f32_e32 v14, v33, v196
	v_fmac_f32_e32 v197, 0xbf7ee86f, v67
	v_fmac_f32_e32 v108, 0x3eb8f4ab, v66
	v_mov_b32_e32 v109, v213
	v_add_f32_e32 v14, v197, v14
	v_fmac_f32_e32 v198, 0xbf4c4adb, v68
	v_add_f32_e32 v108, v33, v108
	v_fmac_f32_e32 v109, 0x3f2c7751, v67
	v_mul_f32_e32 v110, 0x3ee437d1, v110
	v_add_f32_e32 v14, v198, v14
	v_fmac_f32_e32 v199, 0xbe3c28d5, v69
	v_add_f32_e32 v108, v109, v108
	v_mov_b32_e32 v109, v110
	v_add_f32_e32 v14, v199, v14
	v_fmac_f32_e32 v200, 0x3f06c442, v70
	v_fmac_f32_e32 v109, 0x3f65296c, v68
	v_mul_f32_e32 v111, 0x3dbcf732, v111
	v_add_f32_e32 v14, v200, v14
	v_fmac_f32_e32 v201, 0x3f763a35, v71
	v_add_f32_e32 v108, v109, v108
	v_mov_b32_e32 v109, v111
	v_add_f32_e32 v14, v201, v14
	v_fmac_f32_e32 v202, 0x3f65296c, v72
	v_fmac_f32_e32 v109, 0x3f7ee86f, v69
	v_mul_f32_e32 v112, 0xbe8c1d8e, v112
	v_add_f32_e32 v14, v202, v14
	v_fmac_f32_e32 v203, 0x3eb8f4ab, v73
	v_add_f32_e32 v108, v109, v108
	v_mov_b32_e32 v109, v112
	v_add_f32_e32 v15, v203, v14
	v_fma_f32 v14, v74, s14, -v204
	v_fmac_f32_e32 v109, 0x3f763a35, v70
	v_mul_f32_e32 v113, 0xbf1a4643, v113
	v_add_f32_e32 v14, v32, v14
	v_fma_f32 v24, v75, s17, -v205
	v_add_f32_e32 v108, v109, v108
	v_mov_b32_e32 v109, v113
	v_add_f32_e32 v14, v24, v14
	v_fma_f32 v24, v76, s11, -v206
	v_fmac_f32_e32 v109, 0x3f4c4adb, v71
	v_mul_f32_e32 v114, 0xbf59a7d5, v114
	v_add_f32_e32 v14, v24, v14
	v_fma_f32 v24, v77, s8, -v207
	;; [unrolled: 8-line block ×4, first 2 shown]
	v_fmac_f32_e32 v212, 0xbeb8f4ab, v66
	v_add_f32_e32 v109, v109, v108
	v_mov_b32_e32 v108, v116
	v_mul_f32_e32 v117, 0xbf2c7751, v117
	v_add_f32_e32 v14, v24, v14
	v_add_f32_e32 v24, v33, v212
	v_fmac_f32_e32 v213, 0xbf2c7751, v67
	v_fmac_f32_e32 v108, 0x3f6eb680, v74
	v_mov_b32_e32 v214, v117
	v_add_f32_e32 v24, v213, v24
	v_fmac_f32_e32 v110, 0xbf65296c, v68
	v_add_f32_e32 v108, v32, v108
	v_fmac_f32_e32 v214, 0x3f3d2fb0, v75
	v_mul_f32_e32 v118, 0xbf65296c, v118
	v_add_f32_e32 v24, v110, v24
	v_fmac_f32_e32 v111, 0xbf7ee86f, v69
	v_add_f32_e32 v108, v214, v108
	v_mov_b32_e32 v214, v118
	v_add_f32_e32 v24, v111, v24
	v_fmac_f32_e32 v112, 0xbf763a35, v70
	v_fmac_f32_e32 v214, 0x3ee437d1, v76
	v_mul_f32_e32 v119, 0xbf7ee86f, v119
	v_add_f32_e32 v24, v112, v24
	v_fmac_f32_e32 v113, 0xbf4c4adb, v71
	v_add_f32_e32 v108, v214, v108
	v_mov_b32_e32 v214, v119
	v_add_f32_e32 v24, v113, v24
	v_fmac_f32_e32 v114, 0xbf06c442, v72
	v_fmac_f32_e32 v214, 0x3dbcf732, v77
	v_mul_f32_e32 v120, 0xbf763a35, v120
	v_add_f32_e32 v24, v114, v24
	v_fmac_f32_e32 v115, 0xbe3c28d5, v73
	v_add_f32_e32 v108, v214, v108
	v_mov_b32_e32 v214, v120
	v_add_f32_e32 v25, v115, v24
	v_fma_f32 v24, v74, s10, -v116
	v_fmac_f32_e32 v214, 0xbe8c1d8e, v78
	v_mul_f32_e32 v121, 0xbf4c4adb, v121
	v_add_f32_e32 v24, v32, v24
	v_fma_f32 v26, v75, s14, -v117
	v_add_f32_e32 v108, v214, v108
	v_mov_b32_e32 v214, v121
	v_add_f32_e32 v24, v26, v24
	v_fma_f32 v26, v76, s15, -v118
	v_fmac_f32_e32 v214, 0xbf1a4643, v79
	v_mul_f32_e32 v122, 0xbf06c442, v122
	v_add_f32_e32 v24, v26, v24
	v_fma_f32 v26, v77, s17, -v119
	;; [unrolled: 8-line block ×3, first 2 shown]
	v_add_f32_e32 v108, v214, v108
	v_mov_b32_e32 v214, v123
	v_add_f32_e32 v24, v26, v24
	v_fma_f32 v26, v80, s9, -v122
	v_fmac_f32_e32 v214, 0xbf7ba420, v81
	v_add_f32_e32 v24, v26, v24
	v_fma_f32 v26, v81, s8, -v123
	v_add_f32_e32 v108, v214, v108
	v_add_f32_e32 v1, v54, v1
	;; [unrolled: 1-line block ×4, first 2 shown]
	v_lshl_add_u32 v26, v64, 3, v62
	ds_write2_b64 v26, v[0:1], v[108:109] offset1:1
	ds_write2_b64 v26, v[106:107], v[57:58] offset0:2 offset1:3
	ds_write2_b64 v26, v[55:56], v[50:51] offset0:4 offset1:5
	;; [unrolled: 1-line block ×7, first 2 shown]
	ds_write_b64 v26, v[24:25] offset:128
.LBB0_13:
	s_or_b64 exec, exec, s[4:5]
	s_waitcnt lgkmcnt(0)
	s_barrier
	ds_read2_b64 v[0:3], v65 offset1:17
	ds_read2_b64 v[4:7], v65 offset0:34 offset1:51
	ds_read2_b64 v[8:11], v65 offset0:68 offset1:85
	ds_read_b64 v[12:13], v65 offset:816
	s_mov_b32 s5, 0x3f3bfb3b
	s_waitcnt lgkmcnt(3)
	v_mul_f32_e32 v14, v29, v3
	v_fmac_f32_e32 v14, v28, v2
	v_mul_f32_e32 v2, v29, v2
	v_fma_f32 v2, v28, v3, -v2
	s_waitcnt lgkmcnt(2)
	v_mul_f32_e32 v3, v31, v5
	v_fmac_f32_e32 v3, v30, v4
	v_mul_f32_e32 v4, v31, v4
	v_fma_f32 v4, v30, v5, -v4
	v_mul_f32_e32 v5, v21, v7
	v_fmac_f32_e32 v5, v20, v6
	v_mul_f32_e32 v6, v21, v6
	v_fma_f32 v6, v20, v7, -v6
	s_waitcnt lgkmcnt(1)
	v_mul_f32_e32 v7, v23, v9
	v_fmac_f32_e32 v7, v22, v8
	v_mul_f32_e32 v8, v23, v8
	v_fma_f32 v8, v22, v9, -v8
	;; [unrolled: 9-line block ×3, first 2 shown]
	v_add_f32_e32 v13, v14, v11
	v_add_f32_e32 v15, v2, v12
	v_sub_f32_e32 v2, v2, v12
	v_add_f32_e32 v12, v3, v9
	v_sub_f32_e32 v11, v14, v11
	;; [unrolled: 2-line block ×6, first 2 shown]
	v_add_f32_e32 v8, v14, v15
	v_add_f32_e32 v7, v9, v7
	;; [unrolled: 1-line block ×4, first 2 shown]
	v_sub_f32_e32 v16, v12, v13
	v_sub_f32_e32 v17, v14, v15
	;; [unrolled: 1-line block ×6, first 2 shown]
	v_add_f32_e32 v18, v5, v3
	v_add_f32_e32 v1, v1, v8
	v_mov_b32_e32 v22, v0
	v_add_f32_e32 v19, v6, v4
	v_sub_f32_e32 v20, v5, v3
	v_sub_f32_e32 v21, v6, v4
	;; [unrolled: 1-line block ×4, first 2 shown]
	v_add_f32_e32 v9, v18, v11
	v_mul_f32_e32 v10, 0x3f4a47b2, v13
	v_mul_f32_e32 v11, 0x3f4a47b2, v15
	;; [unrolled: 1-line block ×4, first 2 shown]
	v_fmac_f32_e32 v22, 0xbf955555, v7
	v_mov_b32_e32 v7, v1
	v_sub_f32_e32 v6, v2, v6
	v_sub_f32_e32 v4, v4, v2
	v_add_f32_e32 v2, v19, v2
	v_mul_f32_e32 v18, 0x3f08b237, v20
	v_mul_f32_e32 v19, 0x3f08b237, v21
	s_mov_b32 s4, 0xbf5ff5aa
	v_fmac_f32_e32 v7, 0xbf955555, v8
	v_fma_f32 v8, v16, s5, -v13
	v_fma_f32 v13, v17, s5, -v15
	s_mov_b32 s5, 0xbf3bfb3b
	v_mul_f32_e32 v20, 0xbf5ff5aa, v3
	v_mul_f32_e32 v21, 0xbf5ff5aa, v4
	v_fma_f32 v15, v16, s5, -v10
	v_fmac_f32_e32 v10, 0x3d64c772, v12
	v_fma_f32 v12, v17, s5, -v11
	v_fmac_f32_e32 v11, 0x3d64c772, v14
	;; [unrolled: 2-line block ×4, first 2 shown]
	s_mov_b32 s4, 0x3eae86e6
	v_fma_f32 v17, v5, s4, -v20
	v_fma_f32 v20, v6, s4, -v21
	v_add_f32_e32 v21, v10, v22
	v_add_f32_e32 v23, v11, v7
	v_fmac_f32_e32 v18, 0xbee1c552, v9
	v_fmac_f32_e32 v19, 0xbee1c552, v2
	v_add_f32_e32 v8, v8, v22
	v_add_f32_e32 v10, v13, v7
	;; [unrolled: 1-line block ×4, first 2 shown]
	v_fmac_f32_e32 v14, 0xbee1c552, v9
	v_fmac_f32_e32 v16, 0xbee1c552, v2
	;; [unrolled: 1-line block ×4, first 2 shown]
	v_add_f32_e32 v2, v19, v21
	v_sub_f32_e32 v3, v23, v18
	v_add_f32_e32 v4, v20, v11
	v_sub_f32_e32 v5, v12, v17
	v_sub_f32_e32 v6, v8, v16
	v_add_f32_e32 v7, v14, v10
	v_add_f32_e32 v8, v16, v8
	v_sub_f32_e32 v9, v10, v14
	v_sub_f32_e32 v10, v11, v20
	v_add_f32_e32 v11, v17, v12
	v_sub_f32_e32 v12, v21, v19
	v_add_f32_e32 v13, v18, v23
	ds_write2_b64 v63, v[0:1], v[2:3] offset1:17
	ds_write2_b64 v63, v[4:5], v[6:7] offset0:34 offset1:51
	ds_write2_b64 v63, v[8:9], v[10:11] offset0:68 offset1:85
	ds_write_b64 v63, v[12:13] offset:816
	s_waitcnt lgkmcnt(0)
	s_barrier
	s_and_b64 exec, exec, vcc
	s_cbranch_execz .LBB0_15
; %bb.14:
	global_load_dwordx2 v[0:1], v60, s[6:7]
	ds_read_b64 v[4:5], v63
	v_mad_u64_u32 v[2:3], s[4:5], s2, v52, 0
	v_mad_u64_u32 v[6:7], s[4:5], s0, v59, 0
	s_waitcnt lgkmcnt(0)
	v_mad_u64_u32 v[8:9], s[2:3], s3, v52, v[3:4]
	s_mov_b32 s4, 0x1135c811
	s_mov_b32 s5, 0x3f8135c8
	v_mad_u64_u32 v[9:10], s[2:3], s1, v59, v[7:8]
	v_mov_b32_e32 v11, s13
	s_mul_i32 s3, s1, 56
	v_mov_b32_e32 v7, v9
	v_lshlrev_b64 v[6:7], 3, v[6:7]
	s_mul_hi_u32 s8, s0, 56
	s_mul_i32 s2, s0, 56
	s_add_i32 s3, s8, s3
	s_waitcnt vmcnt(0)
	v_mul_f32_e32 v3, v5, v1
	v_mul_f32_e32 v1, v4, v1
	v_fmac_f32_e32 v3, v4, v0
	v_fma_f32 v4, v0, v5, -v1
	v_cvt_f64_f32_e32 v[0:1], v3
	v_cvt_f64_f32_e32 v[4:5], v4
	v_mov_b32_e32 v3, v8
	v_lshlrev_b64 v[2:3], 3, v[2:3]
	v_mul_f64 v[0:1], v[0:1], s[4:5]
	v_mul_f64 v[4:5], v[4:5], s[4:5]
	v_add_co_u32_e32 v9, vcc, s12, v2
	v_addc_co_u32_e32 v10, vcc, v11, v3, vcc
	v_cvt_f32_f64_e32 v0, v[0:1]
	v_cvt_f32_f64_e32 v1, v[4:5]
	v_add_co_u32_e32 v4, vcc, v9, v6
	v_addc_co_u32_e32 v5, vcc, v10, v7, vcc
	global_store_dwordx2 v[4:5], v[0:1], off
	global_load_dwordx2 v[6:7], v60, s[6:7] offset:56
	ds_read2_b64 v[0:3], v63 offset0:7 offset1:14
	v_add_co_u32_e32 v4, vcc, s2, v4
	s_waitcnt vmcnt(0) lgkmcnt(0)
	v_mul_f32_e32 v8, v1, v7
	v_mul_f32_e32 v7, v0, v7
	v_fmac_f32_e32 v8, v0, v6
	v_fma_f32 v6, v6, v1, -v7
	v_cvt_f64_f32_e32 v[0:1], v8
	v_cvt_f64_f32_e32 v[6:7], v6
	v_mov_b32_e32 v8, s3
	v_addc_co_u32_e32 v5, vcc, v5, v8, vcc
	v_mul_f64 v[0:1], v[0:1], s[4:5]
	v_mul_f64 v[6:7], v[6:7], s[4:5]
	v_cvt_f32_f64_e32 v0, v[0:1]
	v_cvt_f32_f64_e32 v1, v[6:7]
	global_store_dwordx2 v[4:5], v[0:1], off
	global_load_dwordx2 v[0:1], v60, s[6:7] offset:112
	v_add_co_u32_e32 v4, vcc, s2, v4
	s_waitcnt vmcnt(0)
	v_mul_f32_e32 v6, v3, v1
	v_mul_f32_e32 v1, v2, v1
	v_fmac_f32_e32 v6, v2, v0
	v_fma_f32 v2, v0, v3, -v1
	v_cvt_f64_f32_e32 v[0:1], v6
	v_cvt_f64_f32_e32 v[2:3], v2
	v_mov_b32_e32 v6, s3
	v_addc_co_u32_e32 v5, vcc, v5, v6, vcc
	v_mul_f64 v[0:1], v[0:1], s[4:5]
	v_mul_f64 v[2:3], v[2:3], s[4:5]
	v_cvt_f32_f64_e32 v0, v[0:1]
	v_cvt_f32_f64_e32 v1, v[2:3]
	global_store_dwordx2 v[4:5], v[0:1], off
	global_load_dwordx2 v[6:7], v60, s[6:7] offset:168
	ds_read2_b64 v[0:3], v63 offset0:21 offset1:28
	v_add_co_u32_e32 v4, vcc, s2, v4
	s_waitcnt vmcnt(0) lgkmcnt(0)
	v_mul_f32_e32 v8, v1, v7
	v_mul_f32_e32 v7, v0, v7
	v_fmac_f32_e32 v8, v0, v6
	v_fma_f32 v6, v6, v1, -v7
	v_cvt_f64_f32_e32 v[0:1], v8
	v_cvt_f64_f32_e32 v[6:7], v6
	v_mov_b32_e32 v8, s3
	v_addc_co_u32_e32 v5, vcc, v5, v8, vcc
	v_mul_f64 v[0:1], v[0:1], s[4:5]
	v_mul_f64 v[6:7], v[6:7], s[4:5]
	v_cvt_f32_f64_e32 v0, v[0:1]
	v_cvt_f32_f64_e32 v1, v[6:7]
	global_store_dwordx2 v[4:5], v[0:1], off
	global_load_dwordx2 v[0:1], v60, s[6:7] offset:224
	v_add_co_u32_e32 v4, vcc, s2, v4
	s_waitcnt vmcnt(0)
	v_mul_f32_e32 v6, v3, v1
	v_mul_f32_e32 v1, v2, v1
	v_fmac_f32_e32 v6, v2, v0
	v_fma_f32 v2, v0, v3, -v1
	v_cvt_f64_f32_e32 v[0:1], v6
	v_cvt_f64_f32_e32 v[2:3], v2
	v_mov_b32_e32 v6, s3
	v_addc_co_u32_e32 v5, vcc, v5, v6, vcc
	v_mul_f64 v[0:1], v[0:1], s[4:5]
	v_mul_f64 v[2:3], v[2:3], s[4:5]
	v_cvt_f32_f64_e32 v0, v[0:1]
	v_cvt_f32_f64_e32 v1, v[2:3]
	;; [unrolled: 33-line block ×3, first 2 shown]
	global_store_dwordx2 v[4:5], v[0:1], off
	global_load_dwordx2 v[6:7], v60, s[6:7] offset:392
	ds_read2_b64 v[0:3], v63 offset0:49 offset1:56
	v_add_co_u32_e32 v4, vcc, s2, v4
	s_waitcnt vmcnt(0) lgkmcnt(0)
	v_mul_f32_e32 v8, v1, v7
	v_mul_f32_e32 v7, v0, v7
	v_fmac_f32_e32 v8, v0, v6
	v_fma_f32 v6, v6, v1, -v7
	v_cvt_f64_f32_e32 v[0:1], v8
	v_cvt_f64_f32_e32 v[6:7], v6
	v_mov_b32_e32 v8, s3
	v_addc_co_u32_e32 v5, vcc, v5, v8, vcc
	v_mul_f64 v[0:1], v[0:1], s[4:5]
	v_mul_f64 v[6:7], v[6:7], s[4:5]
	v_cvt_f32_f64_e32 v0, v[0:1]
	v_cvt_f32_f64_e32 v1, v[6:7]
	v_mad_u64_u32 v[6:7], s[8:9], s0, v61, 0
	global_store_dwordx2 v[4:5], v[0:1], off
	global_load_dwordx2 v[0:1], v60, s[6:7] offset:448
	s_waitcnt vmcnt(0)
	v_mul_f32_e32 v8, v3, v1
	v_mul_f32_e32 v1, v2, v1
	v_fmac_f32_e32 v8, v2, v0
	v_fma_f32 v2, v0, v3, -v1
	v_cvt_f64_f32_e32 v[0:1], v8
	v_cvt_f64_f32_e32 v[2:3], v2
	v_mad_u64_u32 v[7:8], s[8:9], s1, v61, v[7:8]
	v_mul_f64 v[0:1], v[0:1], s[4:5]
	v_mul_f64 v[2:3], v[2:3], s[4:5]
	v_lshlrev_b64 v[6:7], 3, v[6:7]
	v_cvt_f32_f64_e32 v0, v[0:1]
	v_cvt_f32_f64_e32 v1, v[2:3]
	v_add_co_u32_e32 v2, vcc, v9, v6
	v_addc_co_u32_e32 v3, vcc, v10, v7, vcc
	global_store_dwordx2 v[2:3], v[0:1], off
	global_load_dwordx2 v[6:7], v60, s[6:7] offset:504
	ds_read2_b64 v[0:3], v63 offset0:63 offset1:70
	s_waitcnt vmcnt(0) lgkmcnt(0)
	v_mul_f32_e32 v8, v1, v7
	v_mul_f32_e32 v7, v0, v7
	v_fmac_f32_e32 v8, v0, v6
	v_fma_f32 v6, v6, v1, -v7
	v_cvt_f64_f32_e32 v[0:1], v8
	v_cvt_f64_f32_e32 v[6:7], v6
	v_mov_b32_e32 v8, 0x70
	v_mad_u64_u32 v[4:5], s[8:9], s0, v8, v[4:5]
	v_mul_f64 v[0:1], v[0:1], s[4:5]
	v_mul_f64 v[6:7], v[6:7], s[4:5]
	s_mul_i32 s8, s1, 0x70
	v_add_u32_e32 v5, s8, v5
	v_cvt_f32_f64_e32 v0, v[0:1]
	v_cvt_f32_f64_e32 v1, v[6:7]
	global_store_dwordx2 v[4:5], v[0:1], off
	global_load_dwordx2 v[0:1], v60, s[6:7] offset:560
	v_add_co_u32_e32 v4, vcc, s2, v4
	s_waitcnt vmcnt(0)
	v_mul_f32_e32 v6, v3, v1
	v_mul_f32_e32 v1, v2, v1
	v_fmac_f32_e32 v6, v2, v0
	v_fma_f32 v2, v0, v3, -v1
	v_cvt_f64_f32_e32 v[0:1], v6
	v_cvt_f64_f32_e32 v[2:3], v2
	v_mov_b32_e32 v6, s3
	v_addc_co_u32_e32 v5, vcc, v5, v6, vcc
	v_mul_f64 v[0:1], v[0:1], s[4:5]
	v_mul_f64 v[2:3], v[2:3], s[4:5]
	v_cvt_f32_f64_e32 v0, v[0:1]
	v_cvt_f32_f64_e32 v1, v[2:3]
	global_store_dwordx2 v[4:5], v[0:1], off
	global_load_dwordx2 v[6:7], v60, s[6:7] offset:616
	ds_read2_b64 v[0:3], v63 offset0:77 offset1:84
	v_add_co_u32_e32 v4, vcc, s2, v4
	s_waitcnt vmcnt(0) lgkmcnt(0)
	v_mul_f32_e32 v8, v1, v7
	v_mul_f32_e32 v7, v0, v7
	v_fmac_f32_e32 v8, v0, v6
	v_fma_f32 v6, v6, v1, -v7
	v_cvt_f64_f32_e32 v[0:1], v8
	v_cvt_f64_f32_e32 v[6:7], v6
	v_mov_b32_e32 v8, s3
	v_addc_co_u32_e32 v5, vcc, v5, v8, vcc
	v_mul_f64 v[0:1], v[0:1], s[4:5]
	v_mul_f64 v[6:7], v[6:7], s[4:5]
	v_cvt_f32_f64_e32 v0, v[0:1]
	v_cvt_f32_f64_e32 v1, v[6:7]
	global_store_dwordx2 v[4:5], v[0:1], off
	global_load_dwordx2 v[0:1], v60, s[6:7] offset:672
	v_add_co_u32_e32 v4, vcc, s2, v4
	s_waitcnt vmcnt(0)
	v_mul_f32_e32 v6, v3, v1
	v_mul_f32_e32 v1, v2, v1
	v_fmac_f32_e32 v6, v2, v0
	v_fma_f32 v2, v0, v3, -v1
	v_cvt_f64_f32_e32 v[0:1], v6
	v_cvt_f64_f32_e32 v[2:3], v2
	v_mov_b32_e32 v6, s3
	v_addc_co_u32_e32 v5, vcc, v5, v6, vcc
	v_mul_f64 v[0:1], v[0:1], s[4:5]
	v_mul_f64 v[2:3], v[2:3], s[4:5]
	v_cvt_f32_f64_e32 v0, v[0:1]
	v_cvt_f32_f64_e32 v1, v[2:3]
	global_store_dwordx2 v[4:5], v[0:1], off
	global_load_dwordx2 v[6:7], v60, s[6:7] offset:728
	ds_read2_b64 v[0:3], v63 offset0:91 offset1:98
	v_add_co_u32_e32 v4, vcc, s2, v4
	s_waitcnt vmcnt(0) lgkmcnt(0)
	v_mul_f32_e32 v8, v1, v7
	v_mul_f32_e32 v7, v0, v7
	v_fmac_f32_e32 v8, v0, v6
	v_fma_f32 v6, v6, v1, -v7
	v_cvt_f64_f32_e32 v[0:1], v8
	v_cvt_f64_f32_e32 v[6:7], v6
	v_mov_b32_e32 v8, s3
	v_addc_co_u32_e32 v5, vcc, v5, v8, vcc
	v_mul_f64 v[0:1], v[0:1], s[4:5]
	v_mul_f64 v[6:7], v[6:7], s[4:5]
	;; [unrolled: 33-line block ×3, first 2 shown]
	v_cvt_f32_f64_e32 v0, v[0:1]
	v_cvt_f32_f64_e32 v1, v[6:7]
	v_or_b32_e32 v6, 0x70, v59
	global_store_dwordx2 v[4:5], v[0:1], off
	global_load_dwordx2 v[0:1], v60, s[6:7] offset:896
	v_mad_u64_u32 v[4:5], s[2:3], s0, v6, 0
	v_mad_u64_u32 v[5:6], s[0:1], s1, v6, v[5:6]
	v_lshlrev_b64 v[4:5], 3, v[4:5]
	s_waitcnt vmcnt(0)
	v_mul_f32_e32 v7, v3, v1
	v_mul_f32_e32 v1, v2, v1
	v_fmac_f32_e32 v7, v2, v0
	v_fma_f32 v2, v0, v3, -v1
	v_cvt_f64_f32_e32 v[0:1], v7
	v_cvt_f64_f32_e32 v[2:3], v2
	v_mul_f64 v[0:1], v[0:1], s[4:5]
	v_mul_f64 v[2:3], v[2:3], s[4:5]
	v_cvt_f32_f64_e32 v0, v[0:1]
	v_cvt_f32_f64_e32 v1, v[2:3]
	v_add_co_u32_e32 v2, vcc, v9, v4
	v_addc_co_u32_e32 v3, vcc, v10, v5, vcc
	global_store_dwordx2 v[2:3], v[0:1], off
.LBB0_15:
	s_endpgm
	.section	.rodata,"a",@progbits
	.p2align	6, 0x0
	.amdhsa_kernel bluestein_single_fwd_len119_dim1_sp_op_CI_CI
		.amdhsa_group_segment_fixed_size 14280
		.amdhsa_private_segment_fixed_size 0
		.amdhsa_kernarg_size 104
		.amdhsa_user_sgpr_count 6
		.amdhsa_user_sgpr_private_segment_buffer 1
		.amdhsa_user_sgpr_dispatch_ptr 0
		.amdhsa_user_sgpr_queue_ptr 0
		.amdhsa_user_sgpr_kernarg_segment_ptr 1
		.amdhsa_user_sgpr_dispatch_id 0
		.amdhsa_user_sgpr_flat_scratch_init 0
		.amdhsa_user_sgpr_private_segment_size 0
		.amdhsa_uses_dynamic_stack 0
		.amdhsa_system_sgpr_private_segment_wavefront_offset 0
		.amdhsa_system_sgpr_workgroup_id_x 1
		.amdhsa_system_sgpr_workgroup_id_y 0
		.amdhsa_system_sgpr_workgroup_id_z 0
		.amdhsa_system_sgpr_workgroup_info 0
		.amdhsa_system_vgpr_workitem_id 0
		.amdhsa_next_free_vgpr 253
		.amdhsa_next_free_sgpr 18
		.amdhsa_reserve_vcc 1
		.amdhsa_reserve_flat_scratch 0
		.amdhsa_float_round_mode_32 0
		.amdhsa_float_round_mode_16_64 0
		.amdhsa_float_denorm_mode_32 3
		.amdhsa_float_denorm_mode_16_64 3
		.amdhsa_dx10_clamp 1
		.amdhsa_ieee_mode 1
		.amdhsa_fp16_overflow 0
		.amdhsa_exception_fp_ieee_invalid_op 0
		.amdhsa_exception_fp_denorm_src 0
		.amdhsa_exception_fp_ieee_div_zero 0
		.amdhsa_exception_fp_ieee_overflow 0
		.amdhsa_exception_fp_ieee_underflow 0
		.amdhsa_exception_fp_ieee_inexact 0
		.amdhsa_exception_int_div_zero 0
	.end_amdhsa_kernel
	.text
.Lfunc_end0:
	.size	bluestein_single_fwd_len119_dim1_sp_op_CI_CI, .Lfunc_end0-bluestein_single_fwd_len119_dim1_sp_op_CI_CI
                                        ; -- End function
	.section	.AMDGPU.csdata,"",@progbits
; Kernel info:
; codeLenInByte = 15624
; NumSgprs: 22
; NumVgprs: 253
; ScratchSize: 0
; MemoryBound: 0
; FloatMode: 240
; IeeeMode: 1
; LDSByteSize: 14280 bytes/workgroup (compile time only)
; SGPRBlocks: 2
; VGPRBlocks: 63
; NumSGPRsForWavesPerEU: 22
; NumVGPRsForWavesPerEU: 253
; Occupancy: 1
; WaveLimiterHint : 1
; COMPUTE_PGM_RSRC2:SCRATCH_EN: 0
; COMPUTE_PGM_RSRC2:USER_SGPR: 6
; COMPUTE_PGM_RSRC2:TRAP_HANDLER: 0
; COMPUTE_PGM_RSRC2:TGID_X_EN: 1
; COMPUTE_PGM_RSRC2:TGID_Y_EN: 0
; COMPUTE_PGM_RSRC2:TGID_Z_EN: 0
; COMPUTE_PGM_RSRC2:TIDIG_COMP_CNT: 0
	.type	__hip_cuid_34e93c6b70c64db2,@object ; @__hip_cuid_34e93c6b70c64db2
	.section	.bss,"aw",@nobits
	.globl	__hip_cuid_34e93c6b70c64db2
__hip_cuid_34e93c6b70c64db2:
	.byte	0                               ; 0x0
	.size	__hip_cuid_34e93c6b70c64db2, 1

	.ident	"AMD clang version 19.0.0git (https://github.com/RadeonOpenCompute/llvm-project roc-6.4.0 25133 c7fe45cf4b819c5991fe208aaa96edf142730f1d)"
	.section	".note.GNU-stack","",@progbits
	.addrsig
	.addrsig_sym __hip_cuid_34e93c6b70c64db2
	.amdgpu_metadata
---
amdhsa.kernels:
  - .args:
      - .actual_access:  read_only
        .address_space:  global
        .offset:         0
        .size:           8
        .value_kind:     global_buffer
      - .actual_access:  read_only
        .address_space:  global
        .offset:         8
        .size:           8
        .value_kind:     global_buffer
      - .actual_access:  read_only
        .address_space:  global
        .offset:         16
        .size:           8
        .value_kind:     global_buffer
      - .actual_access:  read_only
        .address_space:  global
        .offset:         24
        .size:           8
        .value_kind:     global_buffer
      - .actual_access:  read_only
        .address_space:  global
        .offset:         32
        .size:           8
        .value_kind:     global_buffer
      - .offset:         40
        .size:           8
        .value_kind:     by_value
      - .address_space:  global
        .offset:         48
        .size:           8
        .value_kind:     global_buffer
      - .address_space:  global
        .offset:         56
        .size:           8
        .value_kind:     global_buffer
      - .address_space:  global
        .offset:         64
        .size:           8
        .value_kind:     global_buffer
      - .address_space:  global
        .offset:         72
        .size:           8
        .value_kind:     global_buffer
      - .offset:         80
        .size:           4
        .value_kind:     by_value
      - .address_space:  global
        .offset:         88
        .size:           8
        .value_kind:     global_buffer
      - .address_space:  global
        .offset:         96
        .size:           8
        .value_kind:     global_buffer
    .group_segment_fixed_size: 14280
    .kernarg_segment_align: 8
    .kernarg_segment_size: 104
    .language:       OpenCL C
    .language_version:
      - 2
      - 0
    .max_flat_workgroup_size: 255
    .name:           bluestein_single_fwd_len119_dim1_sp_op_CI_CI
    .private_segment_fixed_size: 0
    .sgpr_count:     22
    .sgpr_spill_count: 0
    .symbol:         bluestein_single_fwd_len119_dim1_sp_op_CI_CI.kd
    .uniform_work_group_size: 1
    .uses_dynamic_stack: false
    .vgpr_count:     253
    .vgpr_spill_count: 0
    .wavefront_size: 64
amdhsa.target:   amdgcn-amd-amdhsa--gfx906
amdhsa.version:
  - 1
  - 2
...

	.end_amdgpu_metadata
